;; amdgpu-corpus repo=zjin-lcf/HeCBench kind=compiled arch=gfx1250 opt=O3
	.amdgcn_target "amdgcn-amd-amdhsa--gfx1250"
	.amdhsa_code_object_version 6
	.text
	.protected	_Z9fft1D_512P15HIP_vector_typeIdLj2EE ; -- Begin function _Z9fft1D_512P15HIP_vector_typeIdLj2EE
	.globl	_Z9fft1D_512P15HIP_vector_typeIdLj2EE
	.p2align	8
	.type	_Z9fft1D_512P15HIP_vector_typeIdLj2EE,@function
_Z9fft1D_512P15HIP_vector_typeIdLj2EE:  ; @_Z9fft1D_512P15HIP_vector_typeIdLj2EE
; %bb.0:
	s_load_b64 s[4:5], s[0:1], 0x4
	s_load_b64 s[12:13], s[2:3], 0x0
	s_wait_xcnt 0x0
	s_bfe_u32 s0, ttmp6, 0x4000c
	s_and_b32 s1, ttmp6, 15
	s_add_co_i32 s0, s0, 1
	s_getreg_b32 s2, hwreg(HW_REG_IB_STS2, 6, 4)
	s_mul_i32 s0, ttmp9, s0
	v_and_b32_e32 v64, 0x3ff, v0
	s_add_co_i32 s1, s1, s0
	v_bfe_u32 v1, v0, 10, 10
	v_bfe_u32 v0, v0, 20, 10
	s_mov_b64 s[6:7], 0x3ff921fb54442d18
	s_mov_b64 s[8:9], 0x3fe45f306dc9c883
	;; [unrolled: 1-line block ×3, first 2 shown]
	s_wait_kmcnt 0x0
	s_lshr_b32 s0, s4, 16
	s_cmp_eq_u32 s2, 0
	v_mul_u32_u24_e32 v1, s5, v1
	s_cselect_b32 s1, ttmp9, s1
	s_mul_i32 s0, s0, s5
	v_lshl_add_u32 v2, s1, 9, v64
	s_mov_b64 s[4:5], 4
	v_mad_u32 v1, s0, v64, v1
	s_mov_b64 s[0:1], 0x3fe6a09e667f3bcd
	s_get_pc_i64 s[2:3]
	s_add_nc_u64 s[2:3], s[2:3], __const._Z9fft1D_512P15HIP_vector_typeIdLj2EE.reversed@rel64+4
	s_clause 0x7
	global_load_b128 v[4:7], v2, s[12:13] offset:3072 scale_offset
	global_load_b128 v[8:11], v2, s[12:13] offset:7168 scale_offset
	;; [unrolled: 1-line block ×6, first 2 shown]
	global_load_b128 v[32:35], v2, s[12:13] scale_offset
	global_load_b128 v[24:27], v2, s[12:13] offset:4096 scale_offset
	v_ashrrev_i32_e32 v3, 31, v2
	v_add_lshl_u32 v65, v1, v0, 7
	s_wait_loadcnt 0x6
	v_add_f64_e64 v[36:37], v[4:5], -v[8:9]
	v_add_f64_e64 v[38:39], v[6:7], -v[10:11]
	s_wait_loadcnt 0x4
	v_add_f64_e64 v[40:41], v[28:29], -v[12:13]
	v_add_f64_e64 v[46:47], v[30:31], -v[14:15]
	v_add_f64_e32 v[0:1], v[28:29], v[12:13]
	v_add_f64_e32 v[52:53], v[30:31], v[14:15]
	;; [unrolled: 1-line block ×4, first 2 shown]
	s_wait_loadcnt 0x2
	v_add_f64_e64 v[58:59], v[20:21], -v[16:17]
	v_add_f64_e64 v[60:61], v[22:23], -v[18:19]
	s_wait_loadcnt 0x1
	ds_store_b128 v65, v[32:35] offset:4608
	ds_store_b128 v65, v[28:31] offset:4624
	ds_load_b128 v[42:45], v65 offset:4608
	v_add_f64_e32 v[32:33], v[20:21], v[16:17]
	v_add_f64_e64 v[48:49], v[38:39], -v[36:37]
	v_add_f64_e64 v[50:51], -v[38:39], -v[36:37]
	v_add_f64_e32 v[34:35], v[40:41], v[46:47]
	v_add_f64_e64 v[36:37], v[46:47], -v[40:41]
	v_add_f64_e32 v[46:47], v[22:23], v[18:19]
	v_add_f64_e64 v[62:63], v[0:1], -v[54:55]
	v_add_f64_e64 v[66:67], v[52:53], -v[56:57]
	v_add_f64_e32 v[54:55], v[0:1], v[54:55]
	v_fma_f64 v[68:69], 0, v[58:59], v[60:61]
	v_fma_f64 v[58:59], v[60:61], 0, -v[58:59]
	v_add_f64_e32 v[56:57], v[52:53], v[56:57]
	v_mov_b64_e32 v[52:53], 0xbe5ae600b42fdfa7
	v_mul_f64_e32 v[38:39], 0x3fe6a09e667f3bcd, v[48:49]
	v_mul_f64_e32 v[40:41], 0x3fe6a09e667f3bcd, v[50:51]
	s_wait_loadcnt_dscnt 0x0
	v_add_f64_e32 v[48:49], v[42:43], v[24:25]
	v_add_f64_e32 v[50:51], v[44:45], v[26:27]
	v_add_f64_e64 v[42:43], v[42:43], -v[24:25]
	v_add_f64_e64 v[44:45], v[44:45], -v[26:27]
	v_fma_f64 v[78:79], 0, v[62:63], v[66:67]
	v_fma_f64 v[62:63], v[66:67], 0, -v[62:63]
	v_fma_f64 v[60:61], v[34:35], s[0:1], -v[38:39]
	;; [unrolled: 1-line block ×3, first 2 shown]
	v_add_f64_e32 v[72:73], v[48:49], v[32:33]
	v_add_f64_e32 v[74:75], v[50:51], v[46:47]
	v_add_f64_e64 v[76:77], v[48:49], -v[32:33]
	v_add_f64_e64 v[46:47], v[50:51], -v[46:47]
	v_add_f64_e32 v[82:83], v[42:43], v[68:69]
	v_add_f64_e32 v[84:85], v[44:45], v[58:59]
	v_add_f64_e64 v[42:43], v[42:43], -v[68:69]
	v_add_f64_e64 v[44:45], v[44:45], -v[58:59]
	v_fmamk_f64 v[34:35], v[34:35], 0x3fe6a09e667f3bcd, v[38:39]
	v_fmamk_f64 v[36:37], v[36:37], 0x3fe6a09e667f3bcd, v[40:41]
	v_lshl_add_u64 v[32:33], v[2:3], 4, s[12:13]
	v_mov_b64_e32 v[50:51], 0x3e21eeb69037ab78
	v_mov_b32_e32 v48, 0
	s_delay_alu instid0(VALU_DEP_3)
	v_add_nc_u64_e32 v[38:39], 0xc00, v[32:33]
	v_add_nc_u64_e32 v[40:41], 0x1000, v[32:33]
	v_fma_f64 v[58:59], 0, v[60:61], v[70:71]
	v_fma_f64 v[60:61], v[70:71], 0, -v[60:61]
	v_add_f64_e32 v[0:1], v[72:73], v[54:55]
	v_add_f64_e64 v[66:67], v[72:73], -v[54:55]
	v_cvt_f64_u32_e32 v[54:55], v64
	v_add_f64_e32 v[2:3], v[74:75], v[56:57]
	v_add_f64_e64 v[68:69], v[74:75], -v[56:57]
	v_add_f64_e32 v[70:71], v[76:77], v[78:79]
	v_add_f64_e32 v[72:73], v[46:47], v[62:63]
	v_add_f64_e64 v[74:75], v[76:77], -v[78:79]
	v_add_f64_e64 v[76:77], v[46:47], -v[62:63]
	v_add_f64_e32 v[78:79], v[82:83], v[34:35]
	v_add_f64_e32 v[80:81], v[84:85], v[36:37]
	v_add_f64_e64 v[82:83], v[82:83], -v[34:35]
	v_add_f64_e64 v[84:85], v[84:85], -v[36:37]
	v_add_nc_u32_e32 v63, 0x1210, v65
	v_add_nc_u64_e32 v[34:35], 0x400, v[32:33]
	v_add_nc_u64_e32 v[36:37], 0x800, v[32:33]
	;; [unrolled: 1-line block ×3, first 2 shown]
	v_add_nc_u32_e32 v56, 0x1200, v65
	v_add_nc_u32_e32 v57, 0x1230, v65
	;; [unrolled: 1-line block ×3, first 2 shown]
	v_mov_b32_e32 v28, v63
	v_add_f64_e32 v[86:87], v[42:43], v[58:59]
	v_add_f64_e32 v[88:89], v[44:45], v[60:61]
	v_add_f64_e64 v[90:91], v[42:43], -v[58:59]
	v_add_f64_e64 v[92:93], v[44:45], -v[60:61]
	v_add_nc_u64_e32 v[42:43], 0x1400, v[32:33]
	v_add_nc_u64_e32 v[44:45], 0x1800, v[32:33]
	v_add_nc_u32_e32 v61, 0x1220, v65
	v_add_nc_u32_e32 v60, 0x1240, v65
	;; [unrolled: 1-line block ×4, first 2 shown]
	ds_store_b128 v65, v[20:23] offset:4640
	ds_store_b128 v65, v[4:7] offset:4656
	;; [unrolled: 1-line block ×14, first 2 shown]
                                        ; implicit-def: $vgpr2_vgpr3
                                        ; implicit-def: $vgpr2_vgpr3
	;; [unrolled: 1-line block ×7, first 2 shown]
	s_branch .LBB0_2
.LBB0_1:                                ;   in Loop: Header=BB0_2 Depth=1
	s_or_b32 exec_lo, exec_lo, s0
	v_mul_f64_e32 v[12:13], v[8:9], v[8:9]
	v_cmp_class_f64_e64 s0, v[6:7], 0x1f8
	v_mul_f64_e32 v[14:15], v[20:21], v[20:21]
	s_delay_alu instid0(VALU_DEP_4) | instskip(SKIP_3) | instid1(VALU_DEP_1)
	v_mul_f64_e32 v[66:67], 0.5, v[10:11]
	s_add_nc_u64 s[4:5], s[4:5], 4
	v_and_b32_e32 v6, 1, v29
	s_cmp_eq_u32 s4, 32
	v_cmp_eq_u32_e64 s1, 0, v6
	v_mul_f64_e32 v[74:75], 0.5, v[22:23]
	v_mul_f64_e32 v[16:17], 0.5, v[12:13]
	v_mul_f64_e64 v[68:69], v[8:9], -v[12:13]
	v_mul_f64_e32 v[18:19], 0.5, v[14:15]
	v_fmamk_f64 v[72:73], v[12:13], 0x3de5e0b2f9a43bb8, v[52:53]
	v_mul_f64_e64 v[76:77], v[20:21], -v[14:15]
	v_fmamk_f64 v[80:81], v[14:15], 0x3de5e0b2f9a43bb8, v[52:53]
	s_delay_alu instid0(VALU_DEP_3) | instskip(NEXT) | instid1(VALU_DEP_1)
	v_fmaak_f64 v[72:73], v[12:13], v[72:73], 0x3ec71de3796cde01
	v_fmaak_f64 v[72:73], v[12:13], v[72:73], 0xbf2a01a019e83e5c
	s_delay_alu instid0(VALU_DEP_1) | instskip(SKIP_1) | instid1(VALU_DEP_2)
	v_fmaak_f64 v[72:73], v[12:13], v[72:73], 0x3f81111111110bb3
	v_add_f64_e64 v[24:25], -v[16:17], 1.0
	v_fmac_f64_e32 v[66:67], v[68:69], v[72:73]
	v_add_f64_e64 v[30:31], -v[18:19], 1.0
	v_mul_f64_e32 v[72:73], v[12:13], v[12:13]
	s_delay_alu instid0(VALU_DEP_4) | instskip(NEXT) | instid1(VALU_DEP_4)
	v_add_f64_e64 v[70:71], -v[24:25], 1.0
	v_fma_f64 v[66:67], v[12:13], v[66:67], -v[10:11]
	s_delay_alu instid0(VALU_DEP_4) | instskip(NEXT) | instid1(VALU_DEP_3)
	v_add_f64_e64 v[78:79], -v[30:31], 1.0
	v_add_f64_e64 v[16:17], v[70:71], -v[16:17]
	v_fmaak_f64 v[70:71], v[14:15], v[80:81], 0x3ec71de3796cde01
	s_delay_alu instid0(VALU_DEP_3) | instskip(SKIP_2) | instid1(VALU_DEP_4)
	v_add_f64_e64 v[18:19], v[78:79], -v[18:19]
	v_mul_f64_e32 v[78:79], v[14:15], v[14:15]
	v_fmac_f64_e32 v[66:67], 0xbfc5555555555555, v[68:69]
	v_fmaak_f64 v[70:71], v[14:15], v[70:71], 0xbf2a01a019e83e5c
	s_delay_alu instid0(VALU_DEP_1) | instskip(NEXT) | instid1(VALU_DEP_1)
	v_fmaak_f64 v[70:71], v[14:15], v[70:71], 0x3f81111111110bb3
	v_fmac_f64_e32 v[74:75], v[76:77], v[70:71]
	v_fmamk_f64 v[70:71], v[12:13], 0xbda907db46cc5e42, v[50:51]
	v_fma_f64 v[10:11], v[8:9], -v[10:11], v[16:17]
	s_delay_alu instid0(VALU_DEP_2) | instskip(SKIP_2) | instid1(VALU_DEP_3)
	v_fmaak_f64 v[16:17], v[12:13], v[70:71], 0xbe927e4fa17f65f6
	v_fmamk_f64 v[70:71], v[14:15], 0xbda907db46cc5e42, v[50:51]
	v_fma_f64 v[18:19], v[20:21], -v[22:23], v[18:19]
	v_fmaak_f64 v[16:17], v[12:13], v[16:17], 0x3efa01a019f4ec90
	s_delay_alu instid0(VALU_DEP_1) | instskip(NEXT) | instid1(VALU_DEP_1)
	v_fmaak_f64 v[16:17], v[12:13], v[16:17], 0xbf56c16c16c16967
	v_fmaak_f64 v[12:13], v[12:13], v[16:17], 0x3fa5555555555555
	;; [unrolled: 1-line block ×3, first 2 shown]
	s_delay_alu instid0(VALU_DEP_2) | instskip(NEXT) | instid1(VALU_DEP_2)
	v_fmac_f64_e32 v[10:11], v[72:73], v[12:13]
	v_fmaak_f64 v[12:13], v[14:15], v[16:17], 0x3efa01a019f4ec90
	v_and_b32_e32 v16, 1, v26
	s_delay_alu instid0(VALU_DEP_1) | instskip(NEXT) | instid1(VALU_DEP_3)
	v_cmp_eq_u32_e32 vcc_lo, 0, v16
	v_fmaak_f64 v[12:13], v[14:15], v[12:13], 0xbf56c16c16c16967
	s_delay_alu instid0(VALU_DEP_1) | instskip(NEXT) | instid1(VALU_DEP_1)
	v_fmaak_f64 v[12:13], v[14:15], v[12:13], 0x3fa5555555555555
	v_fmac_f64_e32 v[18:19], v[78:79], v[12:13]
	v_add_f64_e64 v[12:13], v[8:9], -v[66:67]
	v_add_f64_e32 v[10:11], v[24:25], v[10:11]
	s_delay_alu instid0(VALU_DEP_1) | instskip(NEXT) | instid1(VALU_DEP_1)
	v_dual_cndmask_b32 v10, v12, v10, vcc_lo :: v_dual_lshlrev_b32 v12, 30, v29
	v_cndmask_b32_e64 v10, 0, v10, s0
	v_fma_f64 v[74:75], v[14:15], v[74:75], -v[22:23]
	v_add_f64_e32 v[14:15], v[30:31], v[18:19]
	s_delay_alu instid0(VALU_DEP_4) | instskip(NEXT) | instid1(VALU_DEP_3)
	v_xor_b32_e32 v6, v12, v7
	v_fmac_f64_e32 v[74:75], 0xbfc5555555555555, v[76:77]
	s_delay_alu instid0(VALU_DEP_1) | instskip(NEXT) | instid1(VALU_DEP_1)
	v_add_f64_e64 v[8:9], v[20:21], -v[74:75]
	v_dual_cndmask_b32 v7, v14, v8, s1 :: v_dual_cndmask_b32 v8, v15, v9, s1
	s_delay_alu instid0(VALU_DEP_1) | instskip(NEXT) | instid1(VALU_DEP_2)
	v_bitop3_b32 v8, v8, v6, 0x80000000 bitop3:0x78
	v_cndmask_b32_e64 v6, 0, v7, s0
	s_delay_alu instid0(VALU_DEP_2) | instskip(SKIP_1) | instid1(VALU_DEP_1)
	v_cndmask_b32_e64 v7, 0x7ff80000, v8, s0
	s_wait_dscnt 0x0
	v_mul_f64_e32 v[14:15], v[4:5], v[6:7]
	v_mul_f64_e32 v[8:9], v[2:3], v[6:7]
	v_xor_b32_e32 v6, 0x80000000, v13
	s_delay_alu instid0(VALU_DEP_1) | instskip(NEXT) | instid1(VALU_DEP_1)
	v_dual_cndmask_b32 v6, v6, v11 :: v_dual_lshlrev_b32 v7, 30, v26
	v_bitop3_b32 v6, v6, v7, 0x80000000 bitop3:0x78
	s_delay_alu instid0(VALU_DEP_1) | instskip(NEXT) | instid1(VALU_DEP_1)
	v_cndmask_b32_e64 v11, 0x7ff80000, v6, s0
	v_fma_f64 v[6:7], v[2:3], v[10:11], -v[14:15]
	v_fmac_f64_e32 v[8:9], v[4:5], v[10:11]
	ds_store_b128 v28, v[6:9]
	v_add_nc_u32_e32 v28, 16, v28
	s_cbranch_scc1 .LBB0_10
.LBB0_2:                                ; =>This Inner Loop Header: Depth=1
	s_add_nc_u64 s[0:1], s[2:3], s[4:5]
                                        ; implicit-def: $vgpr26
                                        ; implicit-def: $vgpr8_vgpr9
                                        ; implicit-def: $vgpr10_vgpr11
	s_load_b32 s0, s[0:1], 0x0
	s_wait_kmcnt 0x0
	v_cvt_f64_i32_e32 v[2:3], s0
	s_delay_alu instid0(VALU_DEP_1) | instskip(NEXT) | instid1(VALU_DEP_1)
	v_mul_f64_e32 v[2:3], 0xc01921fb54442d18, v[2:3]
	v_ldexp_f64 v[2:3], v[2:3], -9
	s_delay_alu instid0(VALU_DEP_1)
	v_mul_f64_e32 v[6:7], v[2:3], v[54:55]
	ds_load_b128 v[2:5], v28
	v_cmp_ngt_f64_e64 s0, 0x41d00000, |v[6:7]|
	v_trig_preop_f64 v[16:17], |v[6:7]|, 0
	v_trig_preop_f64 v[14:15], |v[6:7]|, 1
	v_ldexp_f64 v[18:19], |v[6:7]|, 0xffffff80
	v_trig_preop_f64 v[12:13], |v[6:7]|, 2
	v_and_b32_e32 v27, 0x7fffffff, v7
	s_and_saveexec_b32 s1, s0
	s_delay_alu instid0(SALU_CYCLE_1)
	s_xor_b32 s1, exec_lo, s1
	s_cbranch_execz .LBB0_4
; %bb.3:                                ;   in Loop: Header=BB0_2 Depth=1
	v_cmp_le_f64_e64 vcc_lo, 0x7b000000, |v[6:7]|
	s_delay_alu instid0(VALU_DEP_4) | instskip(NEXT) | instid1(VALU_DEP_1)
	v_dual_cndmask_b32 v9, v27, v19 :: v_dual_cndmask_b32 v8, v6, v18
	v_mul_f64_e32 v[10:11], v[16:17], v[8:9]
	v_mul_f64_e32 v[20:21], v[14:15], v[8:9]
	;; [unrolled: 1-line block ×3, first 2 shown]
	s_delay_alu instid0(VALU_DEP_3) | instskip(NEXT) | instid1(VALU_DEP_3)
	v_fma_f64 v[22:23], v[16:17], v[8:9], -v[10:11]
	v_fma_f64 v[72:73], v[14:15], v[8:9], -v[20:21]
	s_delay_alu instid0(VALU_DEP_3) | instskip(NEXT) | instid1(VALU_DEP_3)
	v_fma_f64 v[8:9], v[12:13], v[8:9], -v[70:71]
	v_add_f64_e32 v[24:25], v[20:21], v[22:23]
	s_delay_alu instid0(VALU_DEP_1) | instskip(SKIP_1) | instid1(VALU_DEP_2)
	v_add_f64_e64 v[30:31], v[24:25], -v[20:21]
	v_add_f64_e32 v[68:69], v[10:11], v[24:25]
	v_add_f64_e64 v[66:67], v[24:25], -v[30:31]
	v_add_f64_e64 v[22:23], v[22:23], -v[30:31]
	s_delay_alu instid0(VALU_DEP_3) | instskip(NEXT) | instid1(VALU_DEP_3)
	v_ldexp_f64 v[30:31], v[68:69], -2
	v_add_f64_e64 v[20:21], v[20:21], -v[66:67]
	v_add_f64_e32 v[66:67], v[70:71], v[72:73]
	s_delay_alu instid0(VALU_DEP_3) | instskip(NEXT) | instid1(VALU_DEP_3)
	v_cmp_neq_f64_e64 vcc_lo, 0x7ff00000, |v[30:31]|
	v_add_f64_e32 v[20:21], v[22:23], v[20:21]
	v_fract_f64_e32 v[22:23], v[30:31]
	s_delay_alu instid0(VALU_DEP_1) | instskip(NEXT) | instid1(VALU_DEP_1)
	v_ldexp_f64 v[22:23], v[22:23], 2
	v_cndmask_b32_e32 v23, 0, v23, vcc_lo
	v_add_f64_e64 v[10:11], v[68:69], -v[10:11]
	s_delay_alu instid0(VALU_DEP_3) | instskip(NEXT) | instid1(VALU_DEP_2)
	v_cndmask_b32_e32 v22, 0, v22, vcc_lo
	v_add_f64_e64 v[10:11], v[24:25], -v[10:11]
	v_add_f64_e32 v[24:25], v[66:67], v[20:21]
	s_delay_alu instid0(VALU_DEP_1) | instskip(SKIP_1) | instid1(VALU_DEP_2)
	v_add_f64_e32 v[30:31], v[10:11], v[24:25]
	v_add_f64_e64 v[74:75], v[24:25], -v[66:67]
	v_add_f64_e32 v[68:69], v[30:31], v[22:23]
	s_delay_alu instid0(VALU_DEP_2) | instskip(SKIP_2) | instid1(VALU_DEP_4)
	v_add_f64_e64 v[80:81], v[24:25], -v[74:75]
	v_add_f64_e64 v[20:21], v[20:21], -v[74:75]
	;; [unrolled: 1-line block ×3, first 2 shown]
	v_cmp_gt_f64_e32 vcc_lo, 0, v[68:69]
	v_add_f64_e64 v[68:69], v[66:67], -v[70:71]
	s_delay_alu instid0(VALU_DEP_3) | instskip(SKIP_1) | instid1(VALU_DEP_3)
	v_add_f64_e64 v[10:11], v[24:25], -v[10:11]
	v_cndmask_b32_e64 v49, 0, 0x40100000, vcc_lo
	v_add_f64_e64 v[78:79], v[66:67], -v[68:69]
	v_add_f64_e64 v[68:69], v[72:73], -v[68:69]
	;; [unrolled: 1-line block ×3, first 2 shown]
	s_delay_alu instid0(VALU_DEP_4) | instskip(NEXT) | instid1(VALU_DEP_4)
	v_add_f64_e32 v[22:23], v[22:23], v[48:49]
	v_add_f64_e64 v[72:73], v[70:71], -v[78:79]
	s_delay_alu instid0(VALU_DEP_3) | instskip(NEXT) | instid1(VALU_DEP_3)
	v_add_f64_e32 v[20:21], v[20:21], v[66:67]
	v_add_f64_e32 v[76:77], v[30:31], v[22:23]
	s_delay_alu instid0(VALU_DEP_3) | instskip(NEXT) | instid1(VALU_DEP_2)
	v_add_f64_e32 v[68:69], v[68:69], v[72:73]
	v_cvt_i32_f64_e32 v26, v[76:77]
	s_delay_alu instid0(VALU_DEP_2) | instskip(NEXT) | instid1(VALU_DEP_2)
	v_add_f64_e32 v[20:21], v[68:69], v[20:21]
	v_cvt_f64_i32_e32 v[74:75], v26
	s_delay_alu instid0(VALU_DEP_2) | instskip(NEXT) | instid1(VALU_DEP_2)
	v_add_f64_e32 v[8:9], v[8:9], v[20:21]
	v_add_f64_e64 v[22:23], v[22:23], -v[74:75]
	s_delay_alu instid0(VALU_DEP_2) | instskip(NEXT) | instid1(VALU_DEP_2)
	v_add_f64_e32 v[8:9], v[10:11], v[8:9]
	v_add_f64_e32 v[66:67], v[30:31], v[22:23]
	s_delay_alu instid0(VALU_DEP_1) | instskip(SKIP_1) | instid1(VALU_DEP_2)
	v_add_f64_e64 v[20:21], v[66:67], -v[22:23]
	v_cmp_le_f64_e32 vcc_lo, 0.5, v[66:67]
	v_add_f64_e64 v[10:11], v[30:31], -v[20:21]
	v_cndmask_b32_e64 v49, 0, 0x3ff00000, vcc_lo
	v_add_co_ci_u32_e64 v26, null, 0, v26, vcc_lo
	s_delay_alu instid0(VALU_DEP_3) | instskip(NEXT) | instid1(VALU_DEP_3)
	v_add_f64_e32 v[8:9], v[8:9], v[10:11]
	v_add_f64_e64 v[10:11], v[66:67], -v[48:49]
	s_delay_alu instid0(VALU_DEP_1) | instskip(NEXT) | instid1(VALU_DEP_1)
	v_add_f64_e32 v[20:21], v[10:11], v[8:9]
	v_mul_f64_e32 v[22:23], 0x3ff921fb54442d18, v[20:21]
	v_add_f64_e64 v[10:11], v[20:21], -v[10:11]
	s_delay_alu instid0(VALU_DEP_2) | instskip(NEXT) | instid1(VALU_DEP_2)
	v_fma_f64 v[24:25], v[20:21], s[6:7], -v[22:23]
	v_add_f64_e64 v[8:9], v[8:9], -v[10:11]
	s_delay_alu instid0(VALU_DEP_2) | instskip(NEXT) | instid1(VALU_DEP_1)
	v_fmac_f64_e32 v[24:25], 0x3c91a62633145c07, v[20:21]
	v_fmac_f64_e32 v[24:25], 0x3ff921fb54442d18, v[8:9]
	s_delay_alu instid0(VALU_DEP_1) | instskip(NEXT) | instid1(VALU_DEP_1)
	v_add_f64_e32 v[8:9], v[22:23], v[24:25]
	v_add_f64_e64 v[10:11], v[8:9], -v[22:23]
	s_delay_alu instid0(VALU_DEP_1)
	v_add_f64_e64 v[10:11], v[24:25], -v[10:11]
.LBB0_4:                                ;   in Loop: Header=BB0_2 Depth=1
	s_or_saveexec_b32 s1, s1
	v_mul_f64_e64 v[20:21], |v[6:7]|, s[8:9]
	s_delay_alu instid0(VALU_DEP_1)
	v_rndne_f64_e32 v[24:25], v[20:21]
	s_xor_b32 exec_lo, exec_lo, s1
	s_cbranch_execz .LBB0_6
; %bb.5:                                ;   in Loop: Header=BB0_2 Depth=1
	s_delay_alu instid0(VALU_DEP_1) | instskip(SKIP_2) | instid1(VALU_DEP_3)
	v_fma_f64 v[8:9], v[24:25], s[10:11], |v[6:7]|
	v_mul_f64_e32 v[10:11], 0xbc91a62633145c00, v[24:25]
	v_cvt_i32_f64_e32 v26, v[24:25]
	v_fmamk_f64 v[30:31], v[24:25], 0xbc91a62633145c00, v[8:9]
	s_delay_alu instid0(VALU_DEP_3) | instskip(NEXT) | instid1(VALU_DEP_1)
	v_add_f64_e32 v[20:21], v[8:9], v[10:11]
	v_add_f64_e64 v[22:23], v[8:9], -v[20:21]
	s_delay_alu instid0(VALU_DEP_3) | instskip(NEXT) | instid1(VALU_DEP_2)
	v_add_f64_e64 v[8:9], v[20:21], -v[30:31]
	v_add_f64_e32 v[20:21], v[22:23], v[10:11]
	v_fmamk_f64 v[10:11], v[24:25], 0x3c91a62633145c00, v[10:11]
	s_delay_alu instid0(VALU_DEP_2) | instskip(NEXT) | instid1(VALU_DEP_1)
	v_add_f64_e32 v[8:9], v[8:9], v[20:21]
	v_add_f64_e64 v[10:11], v[8:9], -v[10:11]
	s_delay_alu instid0(VALU_DEP_1) | instskip(NEXT) | instid1(VALU_DEP_1)
	v_fmac_f64_e32 v[10:11], 0xb97b839a252049c0, v[24:25]
	v_add_f64_e32 v[8:9], v[30:31], v[10:11]
	s_delay_alu instid0(VALU_DEP_1) | instskip(NEXT) | instid1(VALU_DEP_1)
	v_add_f64_e64 v[20:21], v[8:9], -v[30:31]
	v_add_f64_e64 v[10:11], v[10:11], -v[20:21]
.LBB0_6:                                ;   in Loop: Header=BB0_2 Depth=1
	s_or_b32 exec_lo, exec_lo, s1
                                        ; implicit-def: $vgpr29
                                        ; implicit-def: $vgpr20_vgpr21
                                        ; implicit-def: $vgpr22_vgpr23
	s_and_saveexec_b32 s1, s0
	s_delay_alu instid0(SALU_CYCLE_1)
	s_xor_b32 s0, exec_lo, s1
	s_cbranch_execz .LBB0_8
; %bb.7:                                ;   in Loop: Header=BB0_2 Depth=1
	v_cmp_le_f64_e64 vcc_lo, 0x7b000000, |v[6:7]|
	v_dual_cndmask_b32 v19, v27, v19 :: v_dual_cndmask_b32 v18, v6, v18
	s_delay_alu instid0(VALU_DEP_1) | instskip(SKIP_2) | instid1(VALU_DEP_3)
	v_mul_f64_e32 v[20:21], v[16:17], v[18:19]
	v_mul_f64_e32 v[22:23], v[14:15], v[18:19]
	v_mul_f64_e32 v[70:71], v[12:13], v[18:19]
	v_fma_f64 v[16:17], v[16:17], v[18:19], -v[20:21]
	s_delay_alu instid0(VALU_DEP_3) | instskip(NEXT) | instid1(VALU_DEP_3)
	v_fma_f64 v[14:15], v[14:15], v[18:19], -v[22:23]
	v_fma_f64 v[12:13], v[12:13], v[18:19], -v[70:71]
	s_delay_alu instid0(VALU_DEP_3) | instskip(NEXT) | instid1(VALU_DEP_1)
	v_add_f64_e32 v[24:25], v[22:23], v[16:17]
	v_add_f64_e64 v[30:31], v[24:25], -v[22:23]
	v_add_f64_e32 v[68:69], v[20:21], v[24:25]
	s_delay_alu instid0(VALU_DEP_2) | instskip(SKIP_1) | instid1(VALU_DEP_3)
	v_add_f64_e64 v[66:67], v[24:25], -v[30:31]
	v_add_f64_e64 v[16:17], v[16:17], -v[30:31]
	v_ldexp_f64 v[30:31], v[68:69], -2
	s_delay_alu instid0(VALU_DEP_3) | instskip(SKIP_1) | instid1(VALU_DEP_3)
	v_add_f64_e64 v[22:23], v[22:23], -v[66:67]
	v_add_f64_e32 v[66:67], v[70:71], v[14:15]
	v_cmp_neq_f64_e64 vcc_lo, 0x7ff00000, |v[30:31]|
	s_delay_alu instid0(VALU_DEP_3) | instskip(SKIP_1) | instid1(VALU_DEP_1)
	v_add_f64_e32 v[16:17], v[16:17], v[22:23]
	v_fract_f64_e32 v[22:23], v[30:31]
	v_ldexp_f64 v[22:23], v[22:23], 2
	s_delay_alu instid0(VALU_DEP_1) | instskip(NEXT) | instid1(VALU_DEP_1)
	v_dual_add_f64 v[20:21], v[68:69], -v[20:21] :: v_dual_cndmask_b32 v22, 0, v22, vcc_lo
	v_dual_add_f64 v[20:21], v[24:25], -v[20:21] :: v_dual_cndmask_b32 v23, 0, v23, vcc_lo
	v_add_f64_e32 v[24:25], v[66:67], v[16:17]
	s_delay_alu instid0(VALU_DEP_1) | instskip(SKIP_1) | instid1(VALU_DEP_2)
	v_add_f64_e32 v[30:31], v[20:21], v[24:25]
	v_add_f64_e64 v[72:73], v[24:25], -v[66:67]
	v_add_f64_e32 v[68:69], v[30:31], v[22:23]
	s_delay_alu instid0(VALU_DEP_2) | instskip(SKIP_2) | instid1(VALU_DEP_4)
	v_add_f64_e64 v[78:79], v[24:25], -v[72:73]
	v_add_f64_e64 v[16:17], v[16:17], -v[72:73]
	;; [unrolled: 1-line block ×3, first 2 shown]
	v_cmp_gt_f64_e32 vcc_lo, 0, v[68:69]
	v_add_f64_e64 v[68:69], v[66:67], -v[70:71]
	s_delay_alu instid0(VALU_DEP_3) | instskip(SKIP_1) | instid1(VALU_DEP_3)
	v_add_f64_e64 v[18:19], v[24:25], -v[18:19]
                                        ; implicit-def: $vgpr24_vgpr25
	v_cndmask_b32_e64 v49, 0, 0x40100000, vcc_lo
	v_add_f64_e64 v[76:77], v[66:67], -v[68:69]
	v_add_f64_e64 v[14:15], v[14:15], -v[68:69]
	;; [unrolled: 1-line block ×3, first 2 shown]
	s_delay_alu instid0(VALU_DEP_4) | instskip(NEXT) | instid1(VALU_DEP_4)
	v_add_f64_e32 v[22:23], v[22:23], v[48:49]
	v_add_f64_e64 v[68:69], v[70:71], -v[76:77]
	s_delay_alu instid0(VALU_DEP_3) | instskip(NEXT) | instid1(VALU_DEP_3)
	v_add_f64_e32 v[16:17], v[16:17], v[66:67]
	v_add_f64_e32 v[74:75], v[30:31], v[22:23]
	s_delay_alu instid0(VALU_DEP_3) | instskip(NEXT) | instid1(VALU_DEP_2)
	v_add_f64_e32 v[14:15], v[14:15], v[68:69]
	v_cvt_i32_f64_e32 v27, v[74:75]
	s_delay_alu instid0(VALU_DEP_2) | instskip(NEXT) | instid1(VALU_DEP_2)
	v_add_f64_e32 v[14:15], v[14:15], v[16:17]
	v_cvt_f64_i32_e32 v[72:73], v27
	s_delay_alu instid0(VALU_DEP_2) | instskip(NEXT) | instid1(VALU_DEP_2)
	v_add_f64_e32 v[12:13], v[12:13], v[14:15]
	v_add_f64_e64 v[22:23], v[22:23], -v[72:73]
	s_delay_alu instid0(VALU_DEP_2) | instskip(NEXT) | instid1(VALU_DEP_2)
	v_add_f64_e32 v[12:13], v[18:19], v[12:13]
	v_add_f64_e32 v[16:17], v[30:31], v[22:23]
	s_delay_alu instid0(VALU_DEP_1) | instskip(SKIP_1) | instid1(VALU_DEP_2)
	v_add_f64_e64 v[14:15], v[16:17], -v[22:23]
	v_cmp_le_f64_e32 vcc_lo, 0.5, v[16:17]
	v_add_f64_e64 v[14:15], v[30:31], -v[14:15]
	v_cndmask_b32_e64 v49, 0, 0x3ff00000, vcc_lo
	v_add_co_ci_u32_e64 v29, null, 0, v27, vcc_lo
	s_delay_alu instid0(VALU_DEP_3) | instskip(NEXT) | instid1(VALU_DEP_3)
	v_add_f64_e32 v[12:13], v[12:13], v[14:15]
	v_add_f64_e64 v[14:15], v[16:17], -v[48:49]
	s_delay_alu instid0(VALU_DEP_1) | instskip(NEXT) | instid1(VALU_DEP_1)
	v_add_f64_e32 v[16:17], v[14:15], v[12:13]
	v_mul_f64_e32 v[18:19], 0x3ff921fb54442d18, v[16:17]
	v_add_f64_e64 v[14:15], v[16:17], -v[14:15]
	s_delay_alu instid0(VALU_DEP_2) | instskip(NEXT) | instid1(VALU_DEP_2)
	v_fma_f64 v[22:23], v[16:17], s[6:7], -v[18:19]
	v_add_f64_e64 v[12:13], v[12:13], -v[14:15]
	s_delay_alu instid0(VALU_DEP_2) | instskip(NEXT) | instid1(VALU_DEP_1)
	v_fmac_f64_e32 v[22:23], 0x3c91a62633145c07, v[16:17]
	v_fmac_f64_e32 v[22:23], 0x3ff921fb54442d18, v[12:13]
	s_delay_alu instid0(VALU_DEP_1) | instskip(NEXT) | instid1(VALU_DEP_1)
	v_add_f64_e32 v[20:21], v[18:19], v[22:23]
	v_add_f64_e64 v[12:13], v[20:21], -v[18:19]
	s_delay_alu instid0(VALU_DEP_1)
	v_add_f64_e64 v[22:23], v[22:23], -v[12:13]
	s_and_not1_saveexec_b32 s0, s0
	s_cbranch_execz .LBB0_1
	s_branch .LBB0_9
.LBB0_8:                                ;   in Loop: Header=BB0_2 Depth=1
	s_and_not1_saveexec_b32 s0, s0
	s_cbranch_execz .LBB0_1
.LBB0_9:                                ;   in Loop: Header=BB0_2 Depth=1
	s_delay_alu instid0(VALU_DEP_1) | instskip(SKIP_2) | instid1(VALU_DEP_2)
	v_fma_f64 v[12:13], v[24:25], s[10:11], |v[6:7]|
	v_mul_f64_e32 v[14:15], 0xbc91a62633145c00, v[24:25]
	v_cvt_i32_f64_e32 v29, v[24:25]
	v_add_f64_e32 v[16:17], v[12:13], v[14:15]
	s_delay_alu instid0(VALU_DEP_1) | instskip(SKIP_1) | instid1(VALU_DEP_1)
	v_add_f64_e64 v[18:19], v[12:13], -v[16:17]
	v_fmamk_f64 v[12:13], v[24:25], 0xbc91a62633145c00, v[12:13]
	v_add_f64_e64 v[16:17], v[16:17], -v[12:13]
	s_delay_alu instid0(VALU_DEP_3) | instskip(SKIP_1) | instid1(VALU_DEP_2)
	v_add_f64_e32 v[18:19], v[18:19], v[14:15]
	v_fmamk_f64 v[14:15], v[24:25], 0x3c91a62633145c00, v[14:15]
	v_add_f64_e32 v[16:17], v[16:17], v[18:19]
	s_delay_alu instid0(VALU_DEP_1) | instskip(NEXT) | instid1(VALU_DEP_1)
	v_add_f64_e64 v[14:15], v[16:17], -v[14:15]
	v_fmac_f64_e32 v[14:15], 0xb97b839a252049c0, v[24:25]
	s_delay_alu instid0(VALU_DEP_1) | instskip(NEXT) | instid1(VALU_DEP_1)
	v_add_f64_e32 v[20:21], v[12:13], v[14:15]
	v_add_f64_e64 v[12:13], v[20:21], -v[12:13]
	s_delay_alu instid0(VALU_DEP_1)
	v_add_f64_e64 v[22:23], v[14:15], -v[12:13]
	s_branch .LBB0_1
.LBB0_10:
	ds_load_2addr_b64 v[2:5], v56 offset0:2 offset1:4
	ds_load_2addr_b64 v[6:9], v56 offset0:6 offset1:8
	;; [unrolled: 1-line block ×3, first 2 shown]
	ds_load_b64 v[14:15], v56 offset:112
	v_dual_lshlrev_b32 v50, 3, v64 :: v_dual_bitop2_b32 v51, 7, v64 bitop3:0x40
	v_and_b32_e32 v16, 0x3f8, v64
	s_mov_b64 s[0:1], 0x3fe6a09e667f3bcd
	s_mov_b64 s[4:5], 4
	s_delay_alu instid0(VALU_DEP_2)
	v_add_nc_u32_e32 v17, 0x800, v50
	s_mov_b64 s[6:7], 0x3ff921fb54442d18
	v_mad_u32_u24 v16, 0x210, v51, v16
	s_mov_b64 s[8:9], 0x3fe45f306dc9c883
	s_mov_b64 s[10:11], 0xbff921fb54442d18
	s_wait_dscnt 0x2
	ds_store_2addr_b64 v50, v[0:1], v[8:9] offset1:66
	s_wait_dscnt 0x2
	ds_store_2addr_b64 v50, v[4:5], v[12:13] offset0:132 offset1:198
	ds_store_2addr_b64 v17, v[2:3], v[10:11] offset0:8 offset1:74
	s_wait_dscnt 0x3
	ds_store_2addr_b64 v17, v[6:7], v[14:15] offset0:140 offset1:206
	s_wait_dscnt 0x0
	s_barrier_signal -1
	s_barrier_wait -1
	ds_load_2addr_b64 v[0:3], v16 offset1:8
	ds_load_2addr_b64 v[4:7], v16 offset0:16 offset1:24
	ds_load_2addr_b64 v[8:11], v16 offset0:32 offset1:40
	;; [unrolled: 1-line block ×3, first 2 shown]
	s_wait_dscnt 0x3
	ds_store_2addr_b64 v56, v[0:1], v[2:3] offset1:2
	s_wait_dscnt 0x3
	ds_store_2addr_b64 v56, v[4:5], v[6:7] offset0:4 offset1:6
	s_wait_dscnt 0x3
	ds_store_2addr_b64 v56, v[8:9], v[10:11] offset0:8 offset1:10
	;; [unrolled: 2-line block ×3, first 2 shown]
	s_wait_dscnt 0x0
	s_barrier_signal -1
	s_barrier_wait -1
	ds_load_2addr_b64 v[0:3], v56 offset0:1 offset1:3
	ds_load_2addr_b64 v[4:7], v56 offset0:5 offset1:7
	;; [unrolled: 1-line block ×4, first 2 shown]
	s_wait_dscnt 0x1
	ds_store_2addr_b64 v50, v[0:1], v[8:9] offset1:66
	s_wait_dscnt 0x1
	ds_store_2addr_b64 v50, v[4:5], v[12:13] offset0:132 offset1:198
	ds_store_2addr_b64 v17, v[2:3], v[10:11] offset0:8 offset1:74
	;; [unrolled: 1-line block ×3, first 2 shown]
	s_wait_dscnt 0x0
	s_barrier_signal -1
	s_barrier_wait -1
	ds_load_2addr_b64 v[0:3], v16 offset1:8
	ds_load_2addr_b64 v[4:7], v16 offset0:16 offset1:24
	ds_load_2addr_b64 v[8:11], v16 offset0:32 offset1:40
	;; [unrolled: 1-line block ×3, first 2 shown]
	s_wait_dscnt 0x3
	ds_store_2addr_b64 v56, v[0:1], v[2:3] offset0:1 offset1:3
	s_wait_dscnt 0x3
	ds_store_2addr_b64 v56, v[4:5], v[6:7] offset0:5 offset1:7
	;; [unrolled: 2-line block ×4, first 2 shown]
	s_wait_dscnt 0x0
	s_barrier_signal -1
	s_barrier_wait -1
	ds_load_b128 v[0:3], v56 offset:48
	ds_load_b128 v[4:7], v56 offset:112
	;; [unrolled: 1-line block ×4, first 2 shown]
	s_wait_dscnt 0x2
	v_add_f64_e64 v[16:17], v[0:1], -v[4:5]
	v_add_f64_e64 v[18:19], v[2:3], -v[6:7]
	s_wait_dscnt 0x0
	v_add_f64_e64 v[24:25], v[8:9], -v[12:13]
	v_add_f64_e64 v[26:27], v[10:11], -v[14:15]
	v_add_f64_e32 v[8:9], v[8:9], v[12:13]
	v_add_f64_e32 v[10:11], v[10:11], v[14:15]
	v_add_f64_e32 v[12:13], v[0:1], v[4:5]
	v_add_f64_e32 v[14:15], v[2:3], v[6:7]
	v_add_f64_e64 v[28:29], v[18:19], -v[16:17]
	v_add_f64_e64 v[30:31], -v[18:19], -v[16:17]
	ds_load_b128 v[16:19], v56 offset:32
	ds_load_b128 v[20:23], v56 offset:96
	v_add_f64_e32 v[54:55], v[24:25], v[26:27]
	v_add_f64_e64 v[24:25], v[26:27], -v[24:25]
	ds_load_b128 v[0:3], v56
	ds_load_b128 v[4:7], v56 offset:64
	s_wait_dscnt 0x2
	v_add_f64_e64 v[48:49], v[16:17], -v[20:21]
	v_add_f64_e64 v[52:53], v[18:19], -v[22:23]
	v_add_f64_e32 v[16:17], v[16:17], v[20:21]
	s_wait_dscnt 0x0
	v_add_f64_e32 v[66:67], v[2:3], v[6:7]
	v_add_f64_e32 v[18:19], v[18:19], v[22:23]
	v_add_f64_e64 v[2:3], v[2:3], -v[6:7]
	v_add_f64_e64 v[20:21], v[8:9], -v[12:13]
	v_add_f64_e64 v[22:23], v[10:11], -v[14:15]
	v_add_f64_e32 v[8:9], v[8:9], v[12:13]
	v_add_f64_e32 v[10:11], v[10:11], v[14:15]
	v_mul_f64_e32 v[26:27], 0x3fe6a09e667f3bcd, v[28:29]
	v_mul_f64_e32 v[28:29], 0x3fe6a09e667f3bcd, v[30:31]
	v_add_f64_e32 v[30:31], v[0:1], v[4:5]
	v_add_f64_e64 v[0:1], v[0:1], -v[4:5]
	v_fma_f64 v[4:5], 0, v[48:49], v[52:53]
	v_fma_f64 v[6:7], v[52:53], 0, -v[48:49]
	v_add_f64_e32 v[70:71], v[66:67], v[18:19]
	v_fma_f64 v[72:73], v[22:23], 0, -v[20:21]
	v_fma_f64 v[48:49], v[54:55], s[0:1], -v[26:27]
	;; [unrolled: 1-line block ×3, first 2 shown]
	v_add_f64_e32 v[68:69], v[30:31], v[16:17]
	v_add_f64_e64 v[12:13], v[30:31], -v[16:17]
	v_add_f64_e64 v[30:31], v[66:67], -v[18:19]
	v_fma_f64 v[66:67], 0, v[20:21], v[22:23]
	v_add_f64_e32 v[74:75], v[0:1], v[4:5]
	v_add_f64_e32 v[76:77], v[2:3], v[6:7]
	v_add_f64_e64 v[6:7], v[2:3], -v[6:7]
	v_add_f64_e64 v[4:5], v[0:1], -v[4:5]
	v_add_f64_e32 v[2:3], v[70:71], v[10:11]
	v_add_f64_e64 v[16:17], v[70:71], -v[10:11]
	v_mov_b64_e32 v[10:11], 0x3e21eeb69037ab78
	v_fma_f64 v[78:79], 0, v[48:49], v[52:53]
	v_fma_f64 v[48:49], v[52:53], 0, -v[48:49]
	v_add_f64_e32 v[0:1], v[68:69], v[8:9]
	v_add_f64_e64 v[14:15], v[68:69], -v[8:9]
	v_fmamk_f64 v[8:9], v[54:55], 0x3fe6a09e667f3bcd, v[26:27]
	v_lshrrev_b32_e32 v52, 3, v64
	v_fmamk_f64 v[54:55], v[24:25], 0x3fe6a09e667f3bcd, v[28:29]
	v_add_f64_e32 v[18:19], v[12:13], v[66:67]
	v_add_f64_e32 v[20:21], v[30:31], v[72:73]
	v_add_f64_e64 v[22:23], v[12:13], -v[66:67]
	v_add_f64_e64 v[24:25], v[30:31], -v[72:73]
	v_mov_b64_e32 v[12:13], 0xbe5ae600b42fdfa7
	v_mov_b32_e32 v53, v63
	v_add_f64_e32 v[26:27], v[74:75], v[8:9]
	v_add_f64_e64 v[64:65], v[74:75], -v[8:9]
	v_add_f64_e32 v[28:29], v[76:77], v[54:55]
	v_dual_add_f64 v[66:67], v[76:77], -v[54:55] :: v_dual_mov_b32 v8, 0
	v_add_f64_e32 v[68:69], v[4:5], v[78:79]
	v_add_f64_e32 v[70:71], v[6:7], v[48:49]
	v_add_f64_e64 v[74:75], v[6:7], -v[48:49]
	v_cvt_f64_u32_e32 v[6:7], v52
	v_add_f64_e64 v[72:73], v[4:5], -v[78:79]
	ds_store_b128 v56, v[0:3]
	ds_store_b128 v56, v[14:17] offset:16
	ds_store_b128 v56, v[18:21] offset:32
	;; [unrolled: 1-line block ×7, first 2 shown]
                                        ; implicit-def: $vgpr2_vgpr3
                                        ; implicit-def: $vgpr2_vgpr3
	;; [unrolled: 1-line block ×7, first 2 shown]
	s_branch .LBB0_12
.LBB0_11:                               ;   in Loop: Header=BB0_12 Depth=1
	s_or_b32 exec_lo, exec_lo, s0
	v_dual_mul_f64 v[20:21], v[16:17], v[16:17] :: v_dual_bitop2_b32 v9, 1, v54 bitop3:0x40
	v_mul_f64_e32 v[22:23], v[28:29], v[28:29]
	s_delay_alu instid0(VALU_DEP_3)
	v_mul_f64_e32 v[68:69], 0.5, v[18:19]
	v_cmp_class_f64_e64 s0, v[14:15], 0x1f8
	s_add_nc_u64 s[4:5], s[4:5], 4
	v_cmp_eq_u32_e32 vcc_lo, 0, v9
	s_cmp_eq_u32 s4, 32
	v_and_b32_e32 v14, 1, v64
	s_delay_alu instid0(VALU_DEP_1)
	v_cmp_eq_u32_e64 s1, 0, v14
	v_mul_f64_e32 v[76:77], 0.5, v[30:31]
	v_mul_f64_e32 v[24:25], 0.5, v[20:21]
	v_mul_f64_e64 v[70:71], v[16:17], -v[20:21]
	v_mul_f64_e32 v[26:27], 0.5, v[22:23]
	v_fmamk_f64 v[74:75], v[20:21], 0x3de5e0b2f9a43bb8, v[12:13]
	v_mul_f64_e64 v[78:79], v[28:29], -v[22:23]
	v_fmamk_f64 v[82:83], v[22:23], 0x3de5e0b2f9a43bb8, v[12:13]
	s_delay_alu instid0(VALU_DEP_3) | instskip(NEXT) | instid1(VALU_DEP_1)
	v_fmaak_f64 v[74:75], v[20:21], v[74:75], 0x3ec71de3796cde01
	v_fmaak_f64 v[74:75], v[20:21], v[74:75], 0xbf2a01a019e83e5c
	s_delay_alu instid0(VALU_DEP_1) | instskip(SKIP_1) | instid1(VALU_DEP_2)
	v_fmaak_f64 v[74:75], v[20:21], v[74:75], 0x3f81111111110bb3
	v_add_f64_e64 v[48:49], -v[24:25], 1.0
	v_fmac_f64_e32 v[68:69], v[70:71], v[74:75]
	v_add_f64_e64 v[66:67], -v[26:27], 1.0
	v_mul_f64_e32 v[74:75], v[20:21], v[20:21]
	s_delay_alu instid0(VALU_DEP_4) | instskip(NEXT) | instid1(VALU_DEP_4)
	v_add_f64_e64 v[72:73], -v[48:49], 1.0
	v_fma_f64 v[68:69], v[20:21], v[68:69], -v[18:19]
	s_delay_alu instid0(VALU_DEP_4) | instskip(NEXT) | instid1(VALU_DEP_3)
	v_add_f64_e64 v[80:81], -v[66:67], 1.0
	v_add_f64_e64 v[24:25], v[72:73], -v[24:25]
	v_fmaak_f64 v[72:73], v[22:23], v[82:83], 0x3ec71de3796cde01
	s_delay_alu instid0(VALU_DEP_3) | instskip(SKIP_2) | instid1(VALU_DEP_4)
	v_add_f64_e64 v[26:27], v[80:81], -v[26:27]
	v_mul_f64_e32 v[80:81], v[22:23], v[22:23]
	v_fmac_f64_e32 v[68:69], 0xbfc5555555555555, v[70:71]
	v_fmaak_f64 v[72:73], v[22:23], v[72:73], 0xbf2a01a019e83e5c
	s_delay_alu instid0(VALU_DEP_1) | instskip(NEXT) | instid1(VALU_DEP_1)
	v_fmaak_f64 v[72:73], v[22:23], v[72:73], 0x3f81111111110bb3
	v_fmac_f64_e32 v[76:77], v[78:79], v[72:73]
	v_fmamk_f64 v[72:73], v[20:21], 0xbda907db46cc5e42, v[10:11]
	v_fma_f64 v[18:19], v[16:17], -v[18:19], v[24:25]
	s_delay_alu instid0(VALU_DEP_2) | instskip(SKIP_2) | instid1(VALU_DEP_3)
	v_fmaak_f64 v[24:25], v[20:21], v[72:73], 0xbe927e4fa17f65f6
	v_fmamk_f64 v[72:73], v[22:23], 0xbda907db46cc5e42, v[10:11]
	v_fma_f64 v[26:27], v[28:29], -v[30:31], v[26:27]
	v_fmaak_f64 v[24:25], v[20:21], v[24:25], 0x3efa01a019f4ec90
	s_delay_alu instid0(VALU_DEP_1) | instskip(NEXT) | instid1(VALU_DEP_1)
	v_fmaak_f64 v[24:25], v[20:21], v[24:25], 0xbf56c16c16c16967
	v_fmaak_f64 v[20:21], v[20:21], v[24:25], 0x3fa5555555555555
	;; [unrolled: 1-line block ×3, first 2 shown]
	s_delay_alu instid0(VALU_DEP_2) | instskip(NEXT) | instid1(VALU_DEP_2)
	v_fmac_f64_e32 v[18:19], v[74:75], v[20:21]
	v_fmaak_f64 v[20:21], v[22:23], v[24:25], 0x3efa01a019f4ec90
	s_delay_alu instid0(VALU_DEP_1) | instskip(NEXT) | instid1(VALU_DEP_1)
	v_fmaak_f64 v[20:21], v[22:23], v[20:21], 0xbf56c16c16c16967
	v_fmaak_f64 v[20:21], v[22:23], v[20:21], 0x3fa5555555555555
	s_delay_alu instid0(VALU_DEP_1) | instskip(SKIP_2) | instid1(VALU_DEP_1)
	v_fmac_f64_e32 v[26:27], v[80:81], v[20:21]
	v_add_f64_e64 v[20:21], v[16:17], -v[68:69]
	v_add_f64_e32 v[18:19], v[48:49], v[18:19]
	v_dual_cndmask_b32 v9, v20, v18 :: v_dual_lshlrev_b32 v18, 30, v64
	s_delay_alu instid0(VALU_DEP_1) | instskip(NEXT) | instid1(VALU_DEP_4)
	v_dual_cndmask_b32 v18, 0, v9, s0 :: v_dual_bitop2_b32 v14, v18, v15 bitop3:0x14
	v_xor_b32_e32 v9, 0x80000000, v21
	v_fma_f64 v[76:77], v[22:23], v[76:77], -v[30:31]
	v_add_f64_e32 v[22:23], v[66:67], v[26:27]
	s_delay_alu instid0(VALU_DEP_3) | instskip(NEXT) | instid1(VALU_DEP_3)
	v_cndmask_b32_e32 v9, v9, v19, vcc_lo
	v_fmac_f64_e32 v[76:77], 0xbfc5555555555555, v[78:79]
	s_delay_alu instid0(VALU_DEP_1) | instskip(NEXT) | instid1(VALU_DEP_1)
	v_add_f64_e64 v[16:17], v[28:29], -v[76:77]
	v_dual_cndmask_b32 v15, v22, v16, s1 :: v_dual_cndmask_b32 v16, v23, v17, s1
	s_delay_alu instid0(VALU_DEP_1) | instskip(NEXT) | instid1(VALU_DEP_2)
	v_bitop3_b32 v16, v16, v14, 0x80000000 bitop3:0x78
	v_cndmask_b32_e64 v14, 0, v15, s0
	s_delay_alu instid0(VALU_DEP_2) | instskip(SKIP_1) | instid1(VALU_DEP_1)
	v_cndmask_b32_e64 v15, 0x7ff80000, v16, s0
	s_wait_dscnt 0x0
	v_mul_f64_e32 v[22:23], v[4:5], v[14:15]
	v_mul_f64_e32 v[16:17], v[2:3], v[14:15]
	v_lshlrev_b32_e32 v14, 30, v54
	s_delay_alu instid0(VALU_DEP_1) | instskip(NEXT) | instid1(VALU_DEP_1)
	v_bitop3_b32 v9, v9, v14, 0x80000000 bitop3:0x78
	v_cndmask_b32_e64 v19, 0x7ff80000, v9, s0
	s_delay_alu instid0(VALU_DEP_1)
	v_fma_f64 v[14:15], v[2:3], v[18:19], -v[22:23]
	v_fmac_f64_e32 v[16:17], v[4:5], v[18:19]
	ds_store_b128 v53, v[14:17]
	v_add_nc_u32_e32 v53, 16, v53
	s_cbranch_scc1 .LBB0_20
.LBB0_12:                               ; =>This Inner Loop Header: Depth=1
	s_add_nc_u64 s[0:1], s[2:3], s[4:5]
                                        ; implicit-def: $vgpr54
                                        ; implicit-def: $vgpr16_vgpr17
                                        ; implicit-def: $vgpr18_vgpr19
	s_load_b32 s0, s[0:1], 0x0
	s_wait_kmcnt 0x0
	v_cvt_f64_i32_e32 v[2:3], s0
	s_delay_alu instid0(VALU_DEP_1) | instskip(NEXT) | instid1(VALU_DEP_1)
	v_mul_f64_e32 v[2:3], 0xc01921fb54442d18, v[2:3]
	v_ldexp_f64 v[2:3], v[2:3], -6
	s_delay_alu instid0(VALU_DEP_1)
	v_mul_f64_e32 v[14:15], v[2:3], v[6:7]
	ds_load_b128 v[2:5], v53
	v_cmp_ngt_f64_e64 s0, 0x41d00000, |v[14:15]|
	v_trig_preop_f64 v[24:25], |v[14:15]|, 0
	v_trig_preop_f64 v[22:23], |v[14:15]|, 1
	v_ldexp_f64 v[26:27], |v[14:15]|, 0xffffff80
	v_trig_preop_f64 v[20:21], |v[14:15]|, 2
	v_and_b32_e32 v55, 0x7fffffff, v15
	s_and_saveexec_b32 s1, s0
	s_delay_alu instid0(SALU_CYCLE_1)
	s_xor_b32 s1, exec_lo, s1
	s_cbranch_execz .LBB0_14
; %bb.13:                               ;   in Loop: Header=BB0_12 Depth=1
	v_cmp_le_f64_e64 vcc_lo, 0x7b000000, |v[14:15]|
	s_delay_alu instid0(VALU_DEP_4) | instskip(NEXT) | instid1(VALU_DEP_1)
	v_dual_cndmask_b32 v17, v55, v27 :: v_dual_cndmask_b32 v16, v14, v26
	v_mul_f64_e32 v[18:19], v[24:25], v[16:17]
	v_mul_f64_e32 v[28:29], v[22:23], v[16:17]
	;; [unrolled: 1-line block ×3, first 2 shown]
	s_delay_alu instid0(VALU_DEP_3) | instskip(NEXT) | instid1(VALU_DEP_3)
	v_fma_f64 v[30:31], v[24:25], v[16:17], -v[18:19]
	v_fma_f64 v[72:73], v[22:23], v[16:17], -v[28:29]
	s_delay_alu instid0(VALU_DEP_3) | instskip(NEXT) | instid1(VALU_DEP_3)
	v_fma_f64 v[16:17], v[20:21], v[16:17], -v[70:71]
	v_add_f64_e32 v[48:49], v[28:29], v[30:31]
	s_delay_alu instid0(VALU_DEP_1) | instskip(SKIP_1) | instid1(VALU_DEP_2)
	v_add_f64_e64 v[64:65], v[48:49], -v[28:29]
	v_add_f64_e32 v[68:69], v[18:19], v[48:49]
	v_add_f64_e64 v[66:67], v[48:49], -v[64:65]
	v_add_f64_e64 v[30:31], v[30:31], -v[64:65]
	s_delay_alu instid0(VALU_DEP_3) | instskip(NEXT) | instid1(VALU_DEP_3)
	v_ldexp_f64 v[64:65], v[68:69], -2
	v_add_f64_e64 v[28:29], v[28:29], -v[66:67]
	v_add_f64_e32 v[66:67], v[70:71], v[72:73]
	s_delay_alu instid0(VALU_DEP_3) | instskip(NEXT) | instid1(VALU_DEP_3)
	v_cmp_neq_f64_e64 vcc_lo, 0x7ff00000, |v[64:65]|
	v_add_f64_e32 v[28:29], v[30:31], v[28:29]
	v_fract_f64_e32 v[30:31], v[64:65]
	s_delay_alu instid0(VALU_DEP_1) | instskip(NEXT) | instid1(VALU_DEP_1)
	v_ldexp_f64 v[30:31], v[30:31], 2
	v_cndmask_b32_e32 v31, 0, v31, vcc_lo
	v_add_f64_e64 v[18:19], v[68:69], -v[18:19]
	s_delay_alu instid0(VALU_DEP_3) | instskip(NEXT) | instid1(VALU_DEP_2)
	v_cndmask_b32_e32 v30, 0, v30, vcc_lo
	v_add_f64_e64 v[18:19], v[48:49], -v[18:19]
	v_add_f64_e32 v[48:49], v[66:67], v[28:29]
	s_delay_alu instid0(VALU_DEP_1) | instskip(SKIP_1) | instid1(VALU_DEP_2)
	v_add_f64_e32 v[64:65], v[18:19], v[48:49]
	v_add_f64_e64 v[74:75], v[48:49], -v[66:67]
	v_add_f64_e32 v[68:69], v[64:65], v[30:31]
	s_delay_alu instid0(VALU_DEP_2) | instskip(SKIP_2) | instid1(VALU_DEP_4)
	v_add_f64_e64 v[80:81], v[48:49], -v[74:75]
	v_add_f64_e64 v[28:29], v[28:29], -v[74:75]
	;; [unrolled: 1-line block ×3, first 2 shown]
	v_cmp_gt_f64_e32 vcc_lo, 0, v[68:69]
	v_add_f64_e64 v[68:69], v[66:67], -v[70:71]
	s_delay_alu instid0(VALU_DEP_3) | instskip(SKIP_1) | instid1(VALU_DEP_3)
	v_add_f64_e64 v[18:19], v[48:49], -v[18:19]
	v_cndmask_b32_e64 v9, 0, 0x40100000, vcc_lo
	v_add_f64_e64 v[78:79], v[66:67], -v[68:69]
	v_add_f64_e64 v[68:69], v[72:73], -v[68:69]
	;; [unrolled: 1-line block ×3, first 2 shown]
	s_delay_alu instid0(VALU_DEP_4) | instskip(NEXT) | instid1(VALU_DEP_4)
	v_add_f64_e32 v[30:31], v[30:31], v[8:9]
	v_add_f64_e64 v[72:73], v[70:71], -v[78:79]
	s_delay_alu instid0(VALU_DEP_3) | instskip(NEXT) | instid1(VALU_DEP_3)
	v_add_f64_e32 v[28:29], v[28:29], v[66:67]
	v_add_f64_e32 v[76:77], v[64:65], v[30:31]
	s_delay_alu instid0(VALU_DEP_3) | instskip(NEXT) | instid1(VALU_DEP_2)
	v_add_f64_e32 v[68:69], v[68:69], v[72:73]
	v_cvt_i32_f64_e32 v54, v[76:77]
	s_delay_alu instid0(VALU_DEP_2) | instskip(NEXT) | instid1(VALU_DEP_2)
	v_add_f64_e32 v[28:29], v[68:69], v[28:29]
	v_cvt_f64_i32_e32 v[74:75], v54
	s_delay_alu instid0(VALU_DEP_2) | instskip(NEXT) | instid1(VALU_DEP_2)
	v_add_f64_e32 v[16:17], v[16:17], v[28:29]
	v_add_f64_e64 v[30:31], v[30:31], -v[74:75]
	s_delay_alu instid0(VALU_DEP_2) | instskip(NEXT) | instid1(VALU_DEP_2)
	v_add_f64_e32 v[16:17], v[18:19], v[16:17]
	v_add_f64_e32 v[66:67], v[64:65], v[30:31]
	s_delay_alu instid0(VALU_DEP_1) | instskip(SKIP_1) | instid1(VALU_DEP_2)
	v_add_f64_e64 v[28:29], v[66:67], -v[30:31]
	v_cmp_le_f64_e32 vcc_lo, 0.5, v[66:67]
	v_add_f64_e64 v[18:19], v[64:65], -v[28:29]
	v_cndmask_b32_e64 v9, 0, 0x3ff00000, vcc_lo
	v_add_co_ci_u32_e64 v54, null, 0, v54, vcc_lo
	s_delay_alu instid0(VALU_DEP_3) | instskip(NEXT) | instid1(VALU_DEP_3)
	v_add_f64_e32 v[16:17], v[16:17], v[18:19]
	v_add_f64_e64 v[18:19], v[66:67], -v[8:9]
	s_delay_alu instid0(VALU_DEP_1) | instskip(NEXT) | instid1(VALU_DEP_1)
	v_add_f64_e32 v[28:29], v[18:19], v[16:17]
	v_mul_f64_e32 v[30:31], 0x3ff921fb54442d18, v[28:29]
	v_add_f64_e64 v[18:19], v[28:29], -v[18:19]
	s_delay_alu instid0(VALU_DEP_2) | instskip(NEXT) | instid1(VALU_DEP_2)
	v_fma_f64 v[48:49], v[28:29], s[6:7], -v[30:31]
	v_add_f64_e64 v[16:17], v[16:17], -v[18:19]
	s_delay_alu instid0(VALU_DEP_2) | instskip(NEXT) | instid1(VALU_DEP_1)
	v_fmac_f64_e32 v[48:49], 0x3c91a62633145c07, v[28:29]
	v_fmac_f64_e32 v[48:49], 0x3ff921fb54442d18, v[16:17]
	s_delay_alu instid0(VALU_DEP_1) | instskip(NEXT) | instid1(VALU_DEP_1)
	v_add_f64_e32 v[16:17], v[30:31], v[48:49]
	v_add_f64_e64 v[18:19], v[16:17], -v[30:31]
	s_delay_alu instid0(VALU_DEP_1)
	v_add_f64_e64 v[18:19], v[48:49], -v[18:19]
.LBB0_14:                               ;   in Loop: Header=BB0_12 Depth=1
	s_or_saveexec_b32 s1, s1
	v_mul_f64_e64 v[28:29], |v[14:15]|, s[8:9]
	s_delay_alu instid0(VALU_DEP_1)
	v_rndne_f64_e32 v[48:49], v[28:29]
	s_xor_b32 exec_lo, exec_lo, s1
	s_cbranch_execz .LBB0_16
; %bb.15:                               ;   in Loop: Header=BB0_12 Depth=1
	s_delay_alu instid0(VALU_DEP_1) | instskip(SKIP_2) | instid1(VALU_DEP_3)
	v_fma_f64 v[16:17], v[48:49], s[10:11], |v[14:15]|
	v_mul_f64_e32 v[18:19], 0xbc91a62633145c00, v[48:49]
	v_cvt_i32_f64_e32 v54, v[48:49]
	v_fmamk_f64 v[64:65], v[48:49], 0xbc91a62633145c00, v[16:17]
	s_delay_alu instid0(VALU_DEP_3) | instskip(NEXT) | instid1(VALU_DEP_1)
	v_add_f64_e32 v[28:29], v[16:17], v[18:19]
	v_add_f64_e64 v[30:31], v[16:17], -v[28:29]
	s_delay_alu instid0(VALU_DEP_3) | instskip(NEXT) | instid1(VALU_DEP_2)
	v_add_f64_e64 v[16:17], v[28:29], -v[64:65]
	v_add_f64_e32 v[28:29], v[30:31], v[18:19]
	v_fmamk_f64 v[18:19], v[48:49], 0x3c91a62633145c00, v[18:19]
	s_delay_alu instid0(VALU_DEP_2) | instskip(NEXT) | instid1(VALU_DEP_1)
	v_add_f64_e32 v[16:17], v[16:17], v[28:29]
	v_add_f64_e64 v[18:19], v[16:17], -v[18:19]
	s_delay_alu instid0(VALU_DEP_1) | instskip(NEXT) | instid1(VALU_DEP_1)
	v_fmac_f64_e32 v[18:19], 0xb97b839a252049c0, v[48:49]
	v_add_f64_e32 v[16:17], v[64:65], v[18:19]
	s_delay_alu instid0(VALU_DEP_1) | instskip(NEXT) | instid1(VALU_DEP_1)
	v_add_f64_e64 v[28:29], v[16:17], -v[64:65]
	v_add_f64_e64 v[18:19], v[18:19], -v[28:29]
.LBB0_16:                               ;   in Loop: Header=BB0_12 Depth=1
	s_or_b32 exec_lo, exec_lo, s1
                                        ; implicit-def: $vgpr64
                                        ; implicit-def: $vgpr28_vgpr29
                                        ; implicit-def: $vgpr30_vgpr31
	s_and_saveexec_b32 s1, s0
	s_delay_alu instid0(SALU_CYCLE_1)
	s_xor_b32 s0, exec_lo, s1
	s_cbranch_execz .LBB0_18
; %bb.17:                               ;   in Loop: Header=BB0_12 Depth=1
	v_cmp_le_f64_e64 vcc_lo, 0x7b000000, |v[14:15]|
	v_dual_cndmask_b32 v27, v55, v27 :: v_dual_cndmask_b32 v26, v14, v26
	s_delay_alu instid0(VALU_DEP_1) | instskip(SKIP_2) | instid1(VALU_DEP_3)
	v_mul_f64_e32 v[28:29], v[24:25], v[26:27]
	v_mul_f64_e32 v[30:31], v[22:23], v[26:27]
	;; [unrolled: 1-line block ×3, first 2 shown]
	v_fma_f64 v[24:25], v[24:25], v[26:27], -v[28:29]
	s_delay_alu instid0(VALU_DEP_3) | instskip(NEXT) | instid1(VALU_DEP_3)
	v_fma_f64 v[22:23], v[22:23], v[26:27], -v[30:31]
	v_fma_f64 v[20:21], v[20:21], v[26:27], -v[70:71]
	s_delay_alu instid0(VALU_DEP_3) | instskip(NEXT) | instid1(VALU_DEP_1)
	v_add_f64_e32 v[48:49], v[30:31], v[24:25]
	v_add_f64_e64 v[64:65], v[48:49], -v[30:31]
	v_add_f64_e32 v[68:69], v[28:29], v[48:49]
	s_delay_alu instid0(VALU_DEP_2) | instskip(SKIP_1) | instid1(VALU_DEP_3)
	v_add_f64_e64 v[66:67], v[48:49], -v[64:65]
	v_add_f64_e64 v[24:25], v[24:25], -v[64:65]
	v_ldexp_f64 v[64:65], v[68:69], -2
	v_add_f64_e64 v[28:29], v[68:69], -v[28:29]
	s_delay_alu instid0(VALU_DEP_4) | instskip(SKIP_1) | instid1(VALU_DEP_4)
	v_add_f64_e64 v[30:31], v[30:31], -v[66:67]
	v_add_f64_e32 v[66:67], v[70:71], v[22:23]
	v_cmp_neq_f64_e64 vcc_lo, 0x7ff00000, |v[64:65]|
	s_delay_alu instid0(VALU_DEP_3) | instskip(SKIP_1) | instid1(VALU_DEP_1)
	v_add_f64_e32 v[24:25], v[24:25], v[30:31]
	v_fract_f64_e32 v[30:31], v[64:65]
	v_ldexp_f64 v[30:31], v[30:31], 2
	s_delay_alu instid0(VALU_DEP_1) | instskip(NEXT) | instid1(VALU_DEP_2)
	v_dual_add_f64 v[28:29], v[48:49], -v[28:29] :: v_dual_cndmask_b32 v31, 0, v31, vcc_lo
	v_dual_add_f64 v[48:49], v[66:67], v[24:25] :: v_dual_cndmask_b32 v30, 0, v30, vcc_lo
	s_delay_alu instid0(VALU_DEP_1) | instskip(SKIP_1) | instid1(VALU_DEP_2)
	v_add_f64_e32 v[64:65], v[28:29], v[48:49]
	v_add_f64_e64 v[72:73], v[48:49], -v[66:67]
	v_add_f64_e32 v[68:69], v[64:65], v[30:31]
	s_delay_alu instid0(VALU_DEP_2) | instskip(SKIP_2) | instid1(VALU_DEP_4)
	v_add_f64_e64 v[78:79], v[48:49], -v[72:73]
	v_add_f64_e64 v[24:25], v[24:25], -v[72:73]
	;; [unrolled: 1-line block ×3, first 2 shown]
	v_cmp_gt_f64_e32 vcc_lo, 0, v[68:69]
	v_add_f64_e64 v[68:69], v[66:67], -v[70:71]
	s_delay_alu instid0(VALU_DEP_3) | instskip(SKIP_1) | instid1(VALU_DEP_3)
	v_add_f64_e64 v[26:27], v[48:49], -v[26:27]
                                        ; implicit-def: $vgpr48_vgpr49
	v_cndmask_b32_e64 v9, 0, 0x40100000, vcc_lo
	v_add_f64_e64 v[76:77], v[66:67], -v[68:69]
	v_add_f64_e64 v[22:23], v[22:23], -v[68:69]
	;; [unrolled: 1-line block ×3, first 2 shown]
	s_delay_alu instid0(VALU_DEP_4) | instskip(NEXT) | instid1(VALU_DEP_4)
	v_add_f64_e32 v[30:31], v[30:31], v[8:9]
	v_add_f64_e64 v[68:69], v[70:71], -v[76:77]
	s_delay_alu instid0(VALU_DEP_3) | instskip(NEXT) | instid1(VALU_DEP_3)
	v_add_f64_e32 v[24:25], v[24:25], v[66:67]
	v_add_f64_e32 v[74:75], v[64:65], v[30:31]
	s_delay_alu instid0(VALU_DEP_3) | instskip(NEXT) | instid1(VALU_DEP_2)
	v_add_f64_e32 v[22:23], v[22:23], v[68:69]
	v_cvt_i32_f64_e32 v9, v[74:75]
	s_delay_alu instid0(VALU_DEP_2) | instskip(NEXT) | instid1(VALU_DEP_2)
	v_add_f64_e32 v[22:23], v[22:23], v[24:25]
	v_cvt_f64_i32_e32 v[72:73], v9
	s_delay_alu instid0(VALU_DEP_2) | instskip(NEXT) | instid1(VALU_DEP_2)
	v_add_f64_e32 v[20:21], v[20:21], v[22:23]
	v_add_f64_e64 v[30:31], v[30:31], -v[72:73]
	s_delay_alu instid0(VALU_DEP_2) | instskip(NEXT) | instid1(VALU_DEP_2)
	v_add_f64_e32 v[20:21], v[26:27], v[20:21]
	v_add_f64_e32 v[24:25], v[64:65], v[30:31]
	s_delay_alu instid0(VALU_DEP_1) | instskip(SKIP_1) | instid1(VALU_DEP_2)
	v_add_f64_e64 v[22:23], v[24:25], -v[30:31]
	v_cmp_le_f64_e32 vcc_lo, 0.5, v[24:25]
	v_add_f64_e64 v[22:23], v[64:65], -v[22:23]
	v_add_co_ci_u32_e64 v64, null, 0, v9, vcc_lo
	v_cndmask_b32_e64 v9, 0, 0x3ff00000, vcc_lo
	s_delay_alu instid0(VALU_DEP_3) | instskip(NEXT) | instid1(VALU_DEP_2)
	v_add_f64_e32 v[20:21], v[20:21], v[22:23]
	v_add_f64_e64 v[22:23], v[24:25], -v[8:9]
	s_delay_alu instid0(VALU_DEP_1) | instskip(NEXT) | instid1(VALU_DEP_1)
	v_add_f64_e32 v[24:25], v[22:23], v[20:21]
	v_mul_f64_e32 v[26:27], 0x3ff921fb54442d18, v[24:25]
	v_add_f64_e64 v[22:23], v[24:25], -v[22:23]
	s_delay_alu instid0(VALU_DEP_2) | instskip(NEXT) | instid1(VALU_DEP_2)
	v_fma_f64 v[30:31], v[24:25], s[6:7], -v[26:27]
	v_add_f64_e64 v[20:21], v[20:21], -v[22:23]
	s_delay_alu instid0(VALU_DEP_2) | instskip(NEXT) | instid1(VALU_DEP_1)
	v_fmac_f64_e32 v[30:31], 0x3c91a62633145c07, v[24:25]
	v_fmac_f64_e32 v[30:31], 0x3ff921fb54442d18, v[20:21]
	s_delay_alu instid0(VALU_DEP_1) | instskip(NEXT) | instid1(VALU_DEP_1)
	v_add_f64_e32 v[28:29], v[26:27], v[30:31]
	v_add_f64_e64 v[20:21], v[28:29], -v[26:27]
	s_delay_alu instid0(VALU_DEP_1)
	v_add_f64_e64 v[30:31], v[30:31], -v[20:21]
	s_and_not1_saveexec_b32 s0, s0
	s_cbranch_execz .LBB0_11
	s_branch .LBB0_19
.LBB0_18:                               ;   in Loop: Header=BB0_12 Depth=1
	s_and_not1_saveexec_b32 s0, s0
	s_cbranch_execz .LBB0_11
.LBB0_19:                               ;   in Loop: Header=BB0_12 Depth=1
	s_delay_alu instid0(VALU_DEP_1) | instskip(SKIP_2) | instid1(VALU_DEP_2)
	v_fma_f64 v[20:21], v[48:49], s[10:11], |v[14:15]|
	v_mul_f64_e32 v[22:23], 0xbc91a62633145c00, v[48:49]
	v_cvt_i32_f64_e32 v64, v[48:49]
	v_add_f64_e32 v[24:25], v[20:21], v[22:23]
	s_delay_alu instid0(VALU_DEP_1) | instskip(SKIP_1) | instid1(VALU_DEP_1)
	v_add_f64_e64 v[26:27], v[20:21], -v[24:25]
	v_fmamk_f64 v[20:21], v[48:49], 0xbc91a62633145c00, v[20:21]
	v_add_f64_e64 v[24:25], v[24:25], -v[20:21]
	s_delay_alu instid0(VALU_DEP_3) | instskip(SKIP_1) | instid1(VALU_DEP_2)
	v_add_f64_e32 v[26:27], v[26:27], v[22:23]
	v_fmamk_f64 v[22:23], v[48:49], 0x3c91a62633145c00, v[22:23]
	v_add_f64_e32 v[24:25], v[24:25], v[26:27]
	s_delay_alu instid0(VALU_DEP_1) | instskip(NEXT) | instid1(VALU_DEP_1)
	v_add_f64_e64 v[22:23], v[24:25], -v[22:23]
	v_fmac_f64_e32 v[22:23], 0xb97b839a252049c0, v[48:49]
	s_delay_alu instid0(VALU_DEP_1) | instskip(NEXT) | instid1(VALU_DEP_1)
	v_add_f64_e32 v[28:29], v[20:21], v[22:23]
	v_add_f64_e64 v[20:21], v[28:29], -v[20:21]
	s_delay_alu instid0(VALU_DEP_1)
	v_add_f64_e64 v[30:31], v[22:23], -v[20:21]
	s_branch .LBB0_11
.LBB0_20:
	ds_load_2addr_b64 v[2:5], v56 offset0:2 offset1:4
	ds_load_2addr_b64 v[6:9], v56 offset0:6 offset1:8
	;; [unrolled: 1-line block ×3, first 2 shown]
	ds_load_b64 v[14:15], v56 offset:112
	v_mul_u32_u24_e32 v16, 0x240, v52
	v_add_nc_u32_e32 v17, 0x800, v50
	s_mov_b64 s[0:1], 0x3fe6a09e667f3bcd
	s_wait_dscnt 0x2
	ds_store_2addr_b64 v50, v[0:1], v[8:9] offset1:72
	s_wait_dscnt 0x2
	ds_store_2addr_b64 v50, v[4:5], v[12:13] offset0:144 offset1:216
	ds_store_2addr_b64 v17, v[2:3], v[10:11] offset0:32 offset1:104
	s_wait_dscnt 0x3
	ds_store_2addr_b64 v17, v[6:7], v[14:15] offset0:176 offset1:248
	v_lshl_or_b32 v28, v51, 3, v16
	s_wait_dscnt 0x0
	s_barrier_signal -1
	s_barrier_wait -1
	ds_load_2addr_b64 v[0:3], v28 offset1:8
	ds_load_2addr_b64 v[4:7], v28 offset0:16 offset1:24
	ds_load_2addr_b64 v[8:11], v28 offset0:32 offset1:40
	;; [unrolled: 1-line block ×3, first 2 shown]
	s_wait_dscnt 0x3
	ds_store_2addr_b64 v56, v[0:1], v[2:3] offset1:2
	s_wait_dscnt 0x3
	ds_store_2addr_b64 v56, v[4:5], v[6:7] offset0:4 offset1:6
	s_wait_dscnt 0x3
	ds_store_2addr_b64 v56, v[8:9], v[10:11] offset0:8 offset1:10
	;; [unrolled: 2-line block ×3, first 2 shown]
	s_wait_dscnt 0x0
	s_barrier_signal -1
	s_barrier_wait -1
	ds_load_2addr_b64 v[0:3], v56 offset0:1 offset1:3
	ds_load_2addr_b64 v[4:7], v56 offset0:5 offset1:7
	;; [unrolled: 1-line block ×4, first 2 shown]
	s_wait_dscnt 0x1
	ds_store_2addr_b64 v50, v[0:1], v[8:9] offset1:72
	s_wait_dscnt 0x1
	ds_store_2addr_b64 v50, v[4:5], v[12:13] offset0:144 offset1:216
	ds_store_2addr_b64 v17, v[2:3], v[10:11] offset0:32 offset1:104
	;; [unrolled: 1-line block ×3, first 2 shown]
	s_wait_dscnt 0x0
	s_barrier_signal -1
	s_barrier_wait -1
	ds_load_2addr_b64 v[0:3], v28 offset0:16 offset1:24
	ds_load_2addr_b64 v[4:7], v56 offset0:4 offset1:6
	;; [unrolled: 1-line block ×4, first 2 shown]
	ds_load_2addr_b64 v[16:19], v28 offset1:8
	ds_load_2addr_b64 v[20:23], v56 offset0:8 offset1:10
	ds_load_2addr_b64 v[24:27], v56 offset1:2
	ds_load_2addr_b64 v[28:31], v28 offset0:32 offset1:40
	s_wait_dscnt 0x5
	v_add_f64_e64 v[48:49], v[6:7], -v[10:11]
	s_wait_dscnt 0x4
	v_add_f64_e64 v[50:51], v[2:3], -v[14:15]
	;; [unrolled: 2-line block ×4, first 2 shown]
	v_add_f64_e32 v[22:23], v[26:27], v[22:23]
	v_add_f64_e32 v[18:19], v[18:19], v[30:31]
	v_add_f64_e32 v[6:7], v[6:7], v[10:11]
	v_add_f64_e32 v[2:3], v[2:3], v[14:15]
	v_add_f64_e64 v[10:11], v[4:5], -v[8:9]
	v_add_f64_e64 v[14:15], v[0:1], -v[12:13]
	v_add_f64_e32 v[4:5], v[4:5], v[8:9]
	v_add_f64_e32 v[8:9], v[24:25], v[20:21]
	;; [unrolled: 1-line block ×3, first 2 shown]
	v_add_f64_e64 v[20:21], v[24:25], -v[20:21]
	v_add_f64_e64 v[64:65], v[50:51], -v[48:49]
	v_add_f64_e64 v[48:49], -v[50:51], -v[48:49]
	v_add_f64_e32 v[26:27], v[52:53], v[54:55]
	v_add_f64_e64 v[30:31], v[54:55], -v[52:53]
	v_add_f64_e32 v[52:53], v[16:17], v[28:29]
	v_add_f64_e64 v[12:13], v[22:23], -v[6:7]
	v_add_f64_e64 v[54:55], v[18:19], -v[2:3]
	;; [unrolled: 1-line block ×3, first 2 shown]
	v_fma_f64 v[24:25], 0, v[10:11], v[14:15]
	v_fma_f64 v[10:11], v[14:15], 0, -v[10:11]
	v_add_f64_e32 v[6:7], v[22:23], v[6:7]
	v_add_f64_e32 v[18:19], v[18:19], v[2:3]
	v_add_f64_e64 v[22:23], v[8:9], -v[4:5]
	v_mul_f64_e32 v[50:51], 0x3fe6a09e667f3bcd, v[64:65]
	v_mul_f64_e32 v[48:49], 0x3fe6a09e667f3bcd, v[48:49]
	v_add_f64_e32 v[64:65], v[8:9], v[4:5]
	v_add_f64_e32 v[66:67], v[52:53], v[0:1]
	v_add_f64_e64 v[52:53], v[52:53], -v[0:1]
	v_fma_f64 v[68:69], 0, v[12:13], v[54:55]
	v_fma_f64 v[54:55], v[54:55], 0, -v[12:13]
	v_add_f64_e32 v[70:71], v[20:21], v[24:25]
	v_add_f64_e32 v[72:73], v[16:17], v[10:11]
	v_add_f64_e64 v[74:75], v[20:21], -v[24:25]
	v_add_f64_e64 v[76:77], v[16:17], -v[10:11]
	v_fma_f64 v[14:15], v[26:27], s[0:1], -v[50:51]
	v_fma_f64 v[28:29], v[30:31], s[0:1], -v[48:49]
	v_fmamk_f64 v[20:21], v[26:27], 0x3fe6a09e667f3bcd, v[50:51]
	v_fmamk_f64 v[24:25], v[30:31], 0x3fe6a09e667f3bcd, v[48:49]
	v_add_f64_e32 v[0:1], v[64:65], v[6:7]
	v_add_f64_e32 v[2:3], v[66:67], v[18:19]
	v_add_f64_e64 v[4:5], v[64:65], -v[6:7]
	v_add_f64_e64 v[6:7], v[66:67], -v[18:19]
	v_add_f64_e32 v[8:9], v[22:23], v[68:69]
	v_add_f64_e32 v[10:11], v[52:53], v[54:55]
	v_add_f64_e64 v[12:13], v[22:23], -v[68:69]
	v_add_f64_e32 v[16:17], v[70:71], v[20:21]
	v_add_f64_e32 v[18:19], v[72:73], v[24:25]
	v_add_f64_e64 v[22:23], v[72:73], -v[24:25]
	v_add_f64_e64 v[20:21], v[70:71], -v[20:21]
	ds_store_b128 v56, v[0:3]
	ds_store_b128 v56, v[4:7] offset:16
	v_fma_f64 v[78:79], 0, v[14:15], v[28:29]
	v_fma_f64 v[80:81], v[28:29], 0, -v[14:15]
	v_add_f64_e64 v[14:15], v[52:53], -v[54:55]
	ds_load_b128 v[0:3], v63
	ds_store_b128 v56, v[8:11] offset:32
	ds_store_b128 v56, v[12:15] offset:48
	v_add_f64_e32 v[24:25], v[74:75], v[78:79]
	v_add_f64_e32 v[26:27], v[76:77], v[80:81]
	v_add_f64_e64 v[28:29], v[74:75], -v[78:79]
	v_add_f64_e64 v[30:31], v[76:77], -v[80:81]
	ds_load_b128 v[4:7], v56
	ds_load_b128 v[8:11], v61
	ds_store_b128 v56, v[16:19] offset:64
	ds_store_b128 v56, v[20:23] offset:80
	ds_load_b128 v[12:15], v60
	ds_store_b128 v56, v[24:27] offset:96
	ds_load_b128 v[16:19], v62
	ds_load_b128 v[20:23], v57
	;; [unrolled: 1-line block ×3, first 2 shown]
	ds_store_b128 v56, v[28:31] offset:112
	ds_load_b128 v[28:31], v59
	s_wait_dscnt 0xa
	global_store_b128 v[32:33], v[4:7], off
	s_wait_dscnt 0x6
	s_clause 0x1
	global_store_b128 v[34:35], v[12:15], off
	global_store_b128 v[36:37], v[8:11], off
	s_wait_dscnt 0x4
	s_clause 0x1
	global_store_b128 v[38:39], v[16:19], off
	;; [unrolled: 4-line block ×3, first 2 shown]
	global_store_b128 v[44:45], v[20:23], off
	s_wait_dscnt 0x0
	global_store_b128 v[46:47], v[28:31], off
	s_sendmsg sendmsg(MSG_DEALLOC_VGPRS)
	s_endpgm
	.section	.rodata,"a",@progbits
	.p2align	6, 0x0
	.amdhsa_kernel _Z9fft1D_512P15HIP_vector_typeIdLj2EE
		.amdhsa_group_segment_fixed_size 135680
		.amdhsa_private_segment_fixed_size 0
		.amdhsa_kernarg_size 8
		.amdhsa_user_sgpr_count 4
		.amdhsa_user_sgpr_dispatch_ptr 1
		.amdhsa_user_sgpr_queue_ptr 0
		.amdhsa_user_sgpr_kernarg_segment_ptr 1
		.amdhsa_user_sgpr_dispatch_id 0
		.amdhsa_user_sgpr_kernarg_preload_length 0
		.amdhsa_user_sgpr_kernarg_preload_offset 0
		.amdhsa_user_sgpr_private_segment_size 0
		.amdhsa_wavefront_size32 1
		.amdhsa_uses_dynamic_stack 0
		.amdhsa_enable_private_segment 0
		.amdhsa_system_sgpr_workgroup_id_x 1
		.amdhsa_system_sgpr_workgroup_id_y 0
		.amdhsa_system_sgpr_workgroup_id_z 0
		.amdhsa_system_sgpr_workgroup_info 0
		.amdhsa_system_vgpr_workitem_id 2
		.amdhsa_next_free_vgpr 94
		.amdhsa_next_free_sgpr 14
		.amdhsa_named_barrier_count 0
		.amdhsa_reserve_vcc 1
		.amdhsa_float_round_mode_32 0
		.amdhsa_float_round_mode_16_64 0
		.amdhsa_float_denorm_mode_32 3
		.amdhsa_float_denorm_mode_16_64 3
		.amdhsa_fp16_overflow 0
		.amdhsa_memory_ordered 1
		.amdhsa_forward_progress 1
		.amdhsa_inst_pref_size 60
		.amdhsa_round_robin_scheduling 0
		.amdhsa_exception_fp_ieee_invalid_op 0
		.amdhsa_exception_fp_denorm_src 0
		.amdhsa_exception_fp_ieee_div_zero 0
		.amdhsa_exception_fp_ieee_overflow 0
		.amdhsa_exception_fp_ieee_underflow 0
		.amdhsa_exception_fp_ieee_inexact 0
		.amdhsa_exception_int_div_zero 0
	.end_amdhsa_kernel
	.text
.Lfunc_end0:
	.size	_Z9fft1D_512P15HIP_vector_typeIdLj2EE, .Lfunc_end0-_Z9fft1D_512P15HIP_vector_typeIdLj2EE
                                        ; -- End function
	.set _Z9fft1D_512P15HIP_vector_typeIdLj2EE.num_vgpr, 94
	.set _Z9fft1D_512P15HIP_vector_typeIdLj2EE.num_agpr, 0
	.set _Z9fft1D_512P15HIP_vector_typeIdLj2EE.numbered_sgpr, 14
	.set _Z9fft1D_512P15HIP_vector_typeIdLj2EE.num_named_barrier, 0
	.set _Z9fft1D_512P15HIP_vector_typeIdLj2EE.private_seg_size, 0
	.set _Z9fft1D_512P15HIP_vector_typeIdLj2EE.uses_vcc, 1
	.set _Z9fft1D_512P15HIP_vector_typeIdLj2EE.uses_flat_scratch, 0
	.set _Z9fft1D_512P15HIP_vector_typeIdLj2EE.has_dyn_sized_stack, 0
	.set _Z9fft1D_512P15HIP_vector_typeIdLj2EE.has_recursion, 0
	.set _Z9fft1D_512P15HIP_vector_typeIdLj2EE.has_indirect_call, 0
	.section	.AMDGPU.csdata,"",@progbits
; Kernel info:
; codeLenInByte = 7628
; TotalNumSgprs: 16
; NumVgprs: 94
; ScratchSize: 0
; MemoryBound: 0
; FloatMode: 240
; IeeeMode: 1
; LDSByteSize: 135680 bytes/workgroup (compile time only)
; SGPRBlocks: 0
; VGPRBlocks: 5
; NumSGPRsForWavesPerEU: 16
; NumVGPRsForWavesPerEU: 94
; NamedBarCnt: 0
; Occupancy: 10
; WaveLimiterHint : 1
; COMPUTE_PGM_RSRC2:SCRATCH_EN: 0
; COMPUTE_PGM_RSRC2:USER_SGPR: 4
; COMPUTE_PGM_RSRC2:TRAP_HANDLER: 0
; COMPUTE_PGM_RSRC2:TGID_X_EN: 1
; COMPUTE_PGM_RSRC2:TGID_Y_EN: 0
; COMPUTE_PGM_RSRC2:TGID_Z_EN: 0
; COMPUTE_PGM_RSRC2:TIDIG_COMP_CNT: 2
	.text
	.protected	_Z10ifft1D_512P15HIP_vector_typeIdLj2EE ; -- Begin function _Z10ifft1D_512P15HIP_vector_typeIdLj2EE
	.globl	_Z10ifft1D_512P15HIP_vector_typeIdLj2EE
	.p2align	8
	.type	_Z10ifft1D_512P15HIP_vector_typeIdLj2EE,@function
_Z10ifft1D_512P15HIP_vector_typeIdLj2EE: ; @_Z10ifft1D_512P15HIP_vector_typeIdLj2EE
; %bb.0:
	s_load_b64 s[4:5], s[0:1], 0x4
	s_load_b64 s[12:13], s[2:3], 0x0
	s_wait_xcnt 0x0
	s_bfe_u32 s0, ttmp6, 0x4000c
	s_and_b32 s1, ttmp6, 15
	s_add_co_i32 s0, s0, 1
	s_getreg_b32 s2, hwreg(HW_REG_IB_STS2, 6, 4)
	s_mul_i32 s0, ttmp9, s0
	v_and_b32_e32 v64, 0x3ff, v0
	s_add_co_i32 s1, s1, s0
	v_bfe_u32 v1, v0, 10, 10
	v_bfe_u32 v0, v0, 20, 10
	s_mov_b64 s[6:7], 0x3ff921fb54442d18
	s_mov_b64 s[8:9], 0x3fe45f306dc9c883
	;; [unrolled: 1-line block ×3, first 2 shown]
	s_wait_kmcnt 0x0
	s_lshr_b32 s0, s4, 16
	s_cmp_eq_u32 s2, 0
	v_mul_u32_u24_e32 v1, s5, v1
	s_cselect_b32 s1, ttmp9, s1
	s_mul_i32 s0, s0, s5
	v_lshl_add_u32 v2, s1, 9, v64
	s_mov_b64 s[4:5], 4
	v_mad_u32 v1, s0, v64, v1
	s_mov_b64 s[0:1], 0x3fe6a09e667f3bcd
	s_get_pc_i64 s[2:3]
	s_add_nc_u64 s[2:3], s[2:3], __const._Z10ifft1D_512P15HIP_vector_typeIdLj2EE.reversed@rel64+4
	s_clause 0x7
	global_load_b128 v[4:7], v2, s[12:13] offset:3072 scale_offset
	global_load_b128 v[8:11], v2, s[12:13] offset:7168 scale_offset
	;; [unrolled: 1-line block ×6, first 2 shown]
	global_load_b128 v[32:35], v2, s[12:13] scale_offset
	global_load_b128 v[24:27], v2, s[12:13] offset:4096 scale_offset
	v_ashrrev_i32_e32 v3, 31, v2
	v_add_lshl_u32 v65, v1, v0, 7
	s_wait_loadcnt 0x6
	v_add_f64_e64 v[36:37], v[4:5], -v[8:9]
	v_add_f64_e64 v[38:39], v[6:7], -v[10:11]
	s_wait_loadcnt 0x4
	v_add_f64_e64 v[40:41], v[28:29], -v[12:13]
	v_add_f64_e64 v[42:43], v[30:31], -v[14:15]
	v_add_f64_e32 v[0:1], v[28:29], v[12:13]
	v_add_f64_e32 v[52:53], v[30:31], v[14:15]
	;; [unrolled: 1-line block ×4, first 2 shown]
	s_wait_loadcnt 0x2
	v_add_f64_e64 v[58:59], v[20:21], -v[16:17]
	v_add_f64_e64 v[60:61], v[22:23], -v[18:19]
	s_wait_loadcnt 0x1
	ds_store_b128 v65, v[32:35] offset:4608
	ds_store_b128 v65, v[28:31] offset:4624
	ds_load_b128 v[44:47], v65 offset:4608
	v_add_f64_e32 v[32:33], v[20:21], v[16:17]
	s_wait_loadcnt_dscnt 0x0
	v_add_f64_e32 v[62:63], v[46:47], v[26:27]
	v_add_f64_e64 v[48:49], -v[36:37], -v[38:39]
	v_add_f64_e64 v[50:51], v[36:37], -v[38:39]
	v_add_f64_e64 v[34:35], v[40:41], -v[42:43]
	v_add_f64_e32 v[36:37], v[40:41], v[42:43]
	v_add_f64_e64 v[46:47], v[46:47], -v[26:27]
	v_add_f64_e64 v[42:43], v[0:1], -v[54:55]
	;; [unrolled: 1-line block ×3, first 2 shown]
	v_add_f64_e32 v[54:55], v[0:1], v[54:55]
	v_fma_f64 v[68:69], v[58:59], 0, -v[60:61]
	v_fmac_f64_e32 v[58:59], 0, v[60:61]
	v_add_f64_e32 v[56:57], v[52:53], v[56:57]
	v_mov_b64_e32 v[52:53], 0xbe5ae600b42fdfa7
	v_mul_f64_e32 v[38:39], 0x3fe6a09e667f3bcd, v[48:49]
	v_mul_f64_e32 v[40:41], 0x3fe6a09e667f3bcd, v[50:51]
	v_add_f64_e32 v[50:51], v[44:45], v[24:25]
	v_add_f64_e32 v[48:49], v[22:23], v[18:19]
	v_add_f64_e64 v[44:45], v[44:45], -v[24:25]
	v_fma_f64 v[78:79], v[42:43], 0, -v[66:67]
	v_fmac_f64_e32 v[42:43], 0, v[66:67]
	v_add_f64_e32 v[84:85], v[46:47], v[58:59]
	v_add_f64_e64 v[46:47], v[46:47], -v[58:59]
	v_fma_f64 v[60:61], v[34:35], s[0:1], -v[38:39]
	v_fma_f64 v[70:71], v[36:37], s[0:1], -v[40:41]
	v_add_f64_e32 v[72:73], v[50:51], v[32:33]
	v_add_f64_e32 v[74:75], v[62:63], v[48:49]
	v_add_f64_e64 v[76:77], v[50:51], -v[32:33]
	v_add_f64_e64 v[62:63], v[62:63], -v[48:49]
	v_add_f64_e32 v[82:83], v[44:45], v[68:69]
	v_add_f64_e64 v[44:45], v[44:45], -v[68:69]
	v_fmamk_f64 v[34:35], v[34:35], 0x3fe6a09e667f3bcd, v[38:39]
	v_fmamk_f64 v[36:37], v[36:37], 0x3fe6a09e667f3bcd, v[40:41]
	v_lshl_add_u64 v[32:33], v[2:3], 4, s[12:13]
	v_mov_b64_e32 v[50:51], 0x3e21eeb69037ab78
	v_mov_b32_e32 v48, 0
	s_delay_alu instid0(VALU_DEP_3)
	v_add_nc_u64_e32 v[38:39], 0xc00, v[32:33]
	v_add_f64_e32 v[80:81], v[84:85], v[36:37]
	v_add_f64_e64 v[84:85], v[84:85], -v[36:37]
	v_add_nc_u64_e32 v[36:37], 0x800, v[32:33]
	v_add_nc_u64_e32 v[40:41], 0x1000, v[32:33]
	v_fma_f64 v[58:59], v[60:61], 0, -v[70:71]
	v_fmac_f64_e32 v[60:61], 0, v[70:71]
	v_add_f64_e32 v[0:1], v[72:73], v[54:55]
	v_add_f64_e64 v[66:67], v[72:73], -v[54:55]
	v_cvt_f64_u32_e32 v[54:55], v64
	v_add_f64_e32 v[2:3], v[74:75], v[56:57]
	v_add_f64_e64 v[68:69], v[74:75], -v[56:57]
	v_add_f64_e32 v[70:71], v[76:77], v[78:79]
	v_add_f64_e32 v[72:73], v[62:63], v[42:43]
	v_add_f64_e64 v[74:75], v[76:77], -v[78:79]
	v_add_f64_e64 v[76:77], v[62:63], -v[42:43]
	v_add_f64_e32 v[78:79], v[82:83], v[34:35]
	v_add_f64_e64 v[82:83], v[82:83], -v[34:35]
	v_add_nc_u32_e32 v63, 0x1210, v65
	v_add_nc_u64_e32 v[34:35], 0x400, v[32:33]
	v_add_nc_u64_e32 v[42:43], 0x1400, v[32:33]
	v_add_nc_u32_e32 v56, 0x1200, v65
	v_add_nc_u32_e32 v57, 0x1230, v65
	;; [unrolled: 1-line block ×3, first 2 shown]
	v_dual_add_f64 v[86:87], v[44:45], v[58:59] :: v_dual_mov_b32 v28, v63
	v_add_f64_e32 v[88:89], v[46:47], v[60:61]
	v_add_f64_e64 v[90:91], v[44:45], -v[58:59]
	v_add_f64_e64 v[92:93], v[46:47], -v[60:61]
	v_add_nc_u64_e32 v[44:45], 0x1800, v[32:33]
	v_add_nc_u64_e32 v[46:47], 0x1c00, v[32:33]
	v_add_nc_u32_e32 v61, 0x1220, v65
	v_add_nc_u32_e32 v60, 0x1240, v65
	;; [unrolled: 1-line block ×4, first 2 shown]
	ds_store_b128 v65, v[20:23] offset:4640
	ds_store_b128 v65, v[4:7] offset:4656
	;; [unrolled: 1-line block ×14, first 2 shown]
                                        ; implicit-def: $vgpr2_vgpr3
                                        ; implicit-def: $vgpr2_vgpr3
                                        ; implicit-def: $vgpr2_vgpr3
                                        ; implicit-def: $vgpr2_vgpr3
                                        ; implicit-def: $vgpr2_vgpr3
                                        ; implicit-def: $vgpr2_vgpr3
                                        ; implicit-def: $vgpr2_vgpr3
	s_branch .LBB1_2
.LBB1_1:                                ;   in Loop: Header=BB1_2 Depth=1
	s_or_b32 exec_lo, exec_lo, s0
	v_mul_f64_e32 v[12:13], v[8:9], v[8:9]
	v_cmp_class_f64_e64 s0, v[6:7], 0x1f8
	v_mul_f64_e32 v[14:15], v[20:21], v[20:21]
	s_delay_alu instid0(VALU_DEP_4) | instskip(SKIP_3) | instid1(VALU_DEP_1)
	v_mul_f64_e32 v[66:67], 0.5, v[10:11]
	s_add_nc_u64 s[4:5], s[4:5], 4
	v_and_b32_e32 v6, 1, v29
	s_cmp_eq_u32 s4, 32
	v_cmp_eq_u32_e64 s1, 0, v6
	v_mul_f64_e32 v[74:75], 0.5, v[22:23]
	v_mul_f64_e32 v[16:17], 0.5, v[12:13]
	v_mul_f64_e64 v[68:69], v[8:9], -v[12:13]
	v_mul_f64_e32 v[18:19], 0.5, v[14:15]
	v_fmamk_f64 v[72:73], v[12:13], 0x3de5e0b2f9a43bb8, v[52:53]
	v_mul_f64_e64 v[76:77], v[20:21], -v[14:15]
	v_fmamk_f64 v[80:81], v[14:15], 0x3de5e0b2f9a43bb8, v[52:53]
	s_delay_alu instid0(VALU_DEP_3) | instskip(NEXT) | instid1(VALU_DEP_1)
	v_fmaak_f64 v[72:73], v[12:13], v[72:73], 0x3ec71de3796cde01
	v_fmaak_f64 v[72:73], v[12:13], v[72:73], 0xbf2a01a019e83e5c
	s_delay_alu instid0(VALU_DEP_1) | instskip(SKIP_1) | instid1(VALU_DEP_2)
	v_fmaak_f64 v[72:73], v[12:13], v[72:73], 0x3f81111111110bb3
	v_add_f64_e64 v[24:25], -v[16:17], 1.0
	v_fmac_f64_e32 v[66:67], v[68:69], v[72:73]
	v_add_f64_e64 v[30:31], -v[18:19], 1.0
	v_mul_f64_e32 v[72:73], v[12:13], v[12:13]
	s_delay_alu instid0(VALU_DEP_4) | instskip(NEXT) | instid1(VALU_DEP_4)
	v_add_f64_e64 v[70:71], -v[24:25], 1.0
	v_fma_f64 v[66:67], v[12:13], v[66:67], -v[10:11]
	s_delay_alu instid0(VALU_DEP_4) | instskip(NEXT) | instid1(VALU_DEP_3)
	v_add_f64_e64 v[78:79], -v[30:31], 1.0
	v_add_f64_e64 v[16:17], v[70:71], -v[16:17]
	v_fmaak_f64 v[70:71], v[14:15], v[80:81], 0x3ec71de3796cde01
	s_delay_alu instid0(VALU_DEP_3) | instskip(SKIP_2) | instid1(VALU_DEP_4)
	v_add_f64_e64 v[18:19], v[78:79], -v[18:19]
	v_mul_f64_e32 v[78:79], v[14:15], v[14:15]
	v_fmac_f64_e32 v[66:67], 0xbfc5555555555555, v[68:69]
	v_fmaak_f64 v[70:71], v[14:15], v[70:71], 0xbf2a01a019e83e5c
	s_delay_alu instid0(VALU_DEP_1) | instskip(NEXT) | instid1(VALU_DEP_1)
	v_fmaak_f64 v[70:71], v[14:15], v[70:71], 0x3f81111111110bb3
	v_fmac_f64_e32 v[74:75], v[76:77], v[70:71]
	v_fmamk_f64 v[70:71], v[12:13], 0xbda907db46cc5e42, v[50:51]
	v_fma_f64 v[10:11], v[8:9], -v[10:11], v[16:17]
	s_delay_alu instid0(VALU_DEP_2) | instskip(SKIP_2) | instid1(VALU_DEP_3)
	v_fmaak_f64 v[16:17], v[12:13], v[70:71], 0xbe927e4fa17f65f6
	v_fmamk_f64 v[70:71], v[14:15], 0xbda907db46cc5e42, v[50:51]
	v_fma_f64 v[18:19], v[20:21], -v[22:23], v[18:19]
	v_fmaak_f64 v[16:17], v[12:13], v[16:17], 0x3efa01a019f4ec90
	s_delay_alu instid0(VALU_DEP_1) | instskip(NEXT) | instid1(VALU_DEP_1)
	v_fmaak_f64 v[16:17], v[12:13], v[16:17], 0xbf56c16c16c16967
	v_fmaak_f64 v[12:13], v[12:13], v[16:17], 0x3fa5555555555555
	v_fmaak_f64 v[16:17], v[14:15], v[70:71], 0xbe927e4fa17f65f6
	s_delay_alu instid0(VALU_DEP_2) | instskip(NEXT) | instid1(VALU_DEP_2)
	v_fmac_f64_e32 v[10:11], v[72:73], v[12:13]
	v_fmaak_f64 v[12:13], v[14:15], v[16:17], 0x3efa01a019f4ec90
	v_and_b32_e32 v16, 1, v26
	s_delay_alu instid0(VALU_DEP_1) | instskip(NEXT) | instid1(VALU_DEP_3)
	v_cmp_eq_u32_e32 vcc_lo, 0, v16
	v_fmaak_f64 v[12:13], v[14:15], v[12:13], 0xbf56c16c16c16967
	s_delay_alu instid0(VALU_DEP_1) | instskip(NEXT) | instid1(VALU_DEP_1)
	v_fmaak_f64 v[12:13], v[14:15], v[12:13], 0x3fa5555555555555
	v_fmac_f64_e32 v[18:19], v[78:79], v[12:13]
	v_add_f64_e64 v[12:13], v[8:9], -v[66:67]
	v_add_f64_e32 v[10:11], v[24:25], v[10:11]
	s_delay_alu instid0(VALU_DEP_1) | instskip(NEXT) | instid1(VALU_DEP_1)
	v_dual_cndmask_b32 v10, v12, v10, vcc_lo :: v_dual_lshlrev_b32 v12, 30, v29
	v_cndmask_b32_e64 v10, 0, v10, s0
	v_fma_f64 v[74:75], v[14:15], v[74:75], -v[22:23]
	v_add_f64_e32 v[14:15], v[30:31], v[18:19]
	s_delay_alu instid0(VALU_DEP_4) | instskip(NEXT) | instid1(VALU_DEP_3)
	v_xor_b32_e32 v6, v12, v7
	v_fmac_f64_e32 v[74:75], 0xbfc5555555555555, v[76:77]
	s_delay_alu instid0(VALU_DEP_1) | instskip(NEXT) | instid1(VALU_DEP_1)
	v_add_f64_e64 v[8:9], v[20:21], -v[74:75]
	v_dual_cndmask_b32 v7, v14, v8, s1 :: v_dual_cndmask_b32 v8, v15, v9, s1
	s_delay_alu instid0(VALU_DEP_1) | instskip(NEXT) | instid1(VALU_DEP_2)
	v_bitop3_b32 v8, v8, v6, 0x80000000 bitop3:0x78
	v_cndmask_b32_e64 v6, 0, v7, s0
	s_delay_alu instid0(VALU_DEP_2) | instskip(SKIP_1) | instid1(VALU_DEP_1)
	v_cndmask_b32_e64 v7, 0x7ff80000, v8, s0
	s_wait_dscnt 0x0
	v_mul_f64_e32 v[14:15], v[4:5], v[6:7]
	v_mul_f64_e32 v[8:9], v[2:3], v[6:7]
	v_xor_b32_e32 v6, 0x80000000, v13
	s_delay_alu instid0(VALU_DEP_1) | instskip(NEXT) | instid1(VALU_DEP_1)
	v_dual_cndmask_b32 v6, v6, v11 :: v_dual_lshlrev_b32 v7, 30, v26
	v_bitop3_b32 v6, v6, v7, 0x80000000 bitop3:0x78
	s_delay_alu instid0(VALU_DEP_1) | instskip(NEXT) | instid1(VALU_DEP_1)
	v_cndmask_b32_e64 v11, 0x7ff80000, v6, s0
	v_fma_f64 v[6:7], v[2:3], v[10:11], -v[14:15]
	v_fmac_f64_e32 v[8:9], v[4:5], v[10:11]
	ds_store_b128 v28, v[6:9]
	v_add_nc_u32_e32 v28, 16, v28
	s_cbranch_scc1 .LBB1_10
.LBB1_2:                                ; =>This Inner Loop Header: Depth=1
	s_add_nc_u64 s[0:1], s[2:3], s[4:5]
                                        ; implicit-def: $vgpr26
                                        ; implicit-def: $vgpr8_vgpr9
                                        ; implicit-def: $vgpr10_vgpr11
	s_load_b32 s0, s[0:1], 0x0
	s_wait_kmcnt 0x0
	v_cvt_f64_i32_e32 v[2:3], s0
	s_delay_alu instid0(VALU_DEP_1) | instskip(NEXT) | instid1(VALU_DEP_1)
	v_mul_f64_e32 v[2:3], 0x401921fb54442d18, v[2:3]
	v_ldexp_f64 v[2:3], v[2:3], -9
	s_delay_alu instid0(VALU_DEP_1)
	v_mul_f64_e32 v[6:7], v[2:3], v[54:55]
	ds_load_b128 v[2:5], v28
	v_cmp_ngt_f64_e64 s0, 0x41d00000, |v[6:7]|
	v_trig_preop_f64 v[16:17], |v[6:7]|, 0
	v_trig_preop_f64 v[14:15], |v[6:7]|, 1
	v_ldexp_f64 v[18:19], |v[6:7]|, 0xffffff80
	v_trig_preop_f64 v[12:13], |v[6:7]|, 2
	v_and_b32_e32 v27, 0x7fffffff, v7
	s_and_saveexec_b32 s1, s0
	s_delay_alu instid0(SALU_CYCLE_1)
	s_xor_b32 s1, exec_lo, s1
	s_cbranch_execz .LBB1_4
; %bb.3:                                ;   in Loop: Header=BB1_2 Depth=1
	v_cmp_le_f64_e64 vcc_lo, 0x7b000000, |v[6:7]|
	s_delay_alu instid0(VALU_DEP_4) | instskip(NEXT) | instid1(VALU_DEP_1)
	v_dual_cndmask_b32 v9, v27, v19 :: v_dual_cndmask_b32 v8, v6, v18
	v_mul_f64_e32 v[10:11], v[16:17], v[8:9]
	v_mul_f64_e32 v[20:21], v[14:15], v[8:9]
	v_mul_f64_e32 v[70:71], v[12:13], v[8:9]
	s_delay_alu instid0(VALU_DEP_3) | instskip(NEXT) | instid1(VALU_DEP_3)
	v_fma_f64 v[22:23], v[16:17], v[8:9], -v[10:11]
	v_fma_f64 v[72:73], v[14:15], v[8:9], -v[20:21]
	s_delay_alu instid0(VALU_DEP_3) | instskip(NEXT) | instid1(VALU_DEP_3)
	v_fma_f64 v[8:9], v[12:13], v[8:9], -v[70:71]
	v_add_f64_e32 v[24:25], v[20:21], v[22:23]
	s_delay_alu instid0(VALU_DEP_1) | instskip(SKIP_1) | instid1(VALU_DEP_2)
	v_add_f64_e64 v[30:31], v[24:25], -v[20:21]
	v_add_f64_e32 v[68:69], v[10:11], v[24:25]
	v_add_f64_e64 v[66:67], v[24:25], -v[30:31]
	v_add_f64_e64 v[22:23], v[22:23], -v[30:31]
	s_delay_alu instid0(VALU_DEP_3) | instskip(NEXT) | instid1(VALU_DEP_3)
	v_ldexp_f64 v[30:31], v[68:69], -2
	v_add_f64_e64 v[20:21], v[20:21], -v[66:67]
	v_add_f64_e32 v[66:67], v[70:71], v[72:73]
	s_delay_alu instid0(VALU_DEP_3) | instskip(NEXT) | instid1(VALU_DEP_3)
	v_cmp_neq_f64_e64 vcc_lo, 0x7ff00000, |v[30:31]|
	v_add_f64_e32 v[20:21], v[22:23], v[20:21]
	v_fract_f64_e32 v[22:23], v[30:31]
	s_delay_alu instid0(VALU_DEP_1) | instskip(NEXT) | instid1(VALU_DEP_1)
	v_ldexp_f64 v[22:23], v[22:23], 2
	v_cndmask_b32_e32 v23, 0, v23, vcc_lo
	v_add_f64_e64 v[10:11], v[68:69], -v[10:11]
	s_delay_alu instid0(VALU_DEP_3) | instskip(NEXT) | instid1(VALU_DEP_2)
	v_cndmask_b32_e32 v22, 0, v22, vcc_lo
	v_add_f64_e64 v[10:11], v[24:25], -v[10:11]
	v_add_f64_e32 v[24:25], v[66:67], v[20:21]
	s_delay_alu instid0(VALU_DEP_1) | instskip(SKIP_1) | instid1(VALU_DEP_2)
	v_add_f64_e32 v[30:31], v[10:11], v[24:25]
	v_add_f64_e64 v[74:75], v[24:25], -v[66:67]
	v_add_f64_e32 v[68:69], v[30:31], v[22:23]
	s_delay_alu instid0(VALU_DEP_2) | instskip(SKIP_2) | instid1(VALU_DEP_4)
	v_add_f64_e64 v[80:81], v[24:25], -v[74:75]
	v_add_f64_e64 v[20:21], v[20:21], -v[74:75]
	;; [unrolled: 1-line block ×3, first 2 shown]
	v_cmp_gt_f64_e32 vcc_lo, 0, v[68:69]
	v_add_f64_e64 v[68:69], v[66:67], -v[70:71]
	s_delay_alu instid0(VALU_DEP_3) | instskip(SKIP_1) | instid1(VALU_DEP_3)
	v_add_f64_e64 v[10:11], v[24:25], -v[10:11]
	v_cndmask_b32_e64 v49, 0, 0x40100000, vcc_lo
	v_add_f64_e64 v[78:79], v[66:67], -v[68:69]
	v_add_f64_e64 v[68:69], v[72:73], -v[68:69]
	;; [unrolled: 1-line block ×3, first 2 shown]
	s_delay_alu instid0(VALU_DEP_4) | instskip(NEXT) | instid1(VALU_DEP_4)
	v_add_f64_e32 v[22:23], v[22:23], v[48:49]
	v_add_f64_e64 v[72:73], v[70:71], -v[78:79]
	s_delay_alu instid0(VALU_DEP_3) | instskip(NEXT) | instid1(VALU_DEP_3)
	v_add_f64_e32 v[20:21], v[20:21], v[66:67]
	v_add_f64_e32 v[76:77], v[30:31], v[22:23]
	s_delay_alu instid0(VALU_DEP_3) | instskip(NEXT) | instid1(VALU_DEP_2)
	v_add_f64_e32 v[68:69], v[68:69], v[72:73]
	v_cvt_i32_f64_e32 v26, v[76:77]
	s_delay_alu instid0(VALU_DEP_2) | instskip(NEXT) | instid1(VALU_DEP_2)
	v_add_f64_e32 v[20:21], v[68:69], v[20:21]
	v_cvt_f64_i32_e32 v[74:75], v26
	s_delay_alu instid0(VALU_DEP_2) | instskip(NEXT) | instid1(VALU_DEP_2)
	v_add_f64_e32 v[8:9], v[8:9], v[20:21]
	v_add_f64_e64 v[22:23], v[22:23], -v[74:75]
	s_delay_alu instid0(VALU_DEP_2) | instskip(NEXT) | instid1(VALU_DEP_2)
	v_add_f64_e32 v[8:9], v[10:11], v[8:9]
	v_add_f64_e32 v[66:67], v[30:31], v[22:23]
	s_delay_alu instid0(VALU_DEP_1) | instskip(SKIP_1) | instid1(VALU_DEP_2)
	v_add_f64_e64 v[20:21], v[66:67], -v[22:23]
	v_cmp_le_f64_e32 vcc_lo, 0.5, v[66:67]
	v_add_f64_e64 v[10:11], v[30:31], -v[20:21]
	v_cndmask_b32_e64 v49, 0, 0x3ff00000, vcc_lo
	v_add_co_ci_u32_e64 v26, null, 0, v26, vcc_lo
	s_delay_alu instid0(VALU_DEP_3) | instskip(NEXT) | instid1(VALU_DEP_3)
	v_add_f64_e32 v[8:9], v[8:9], v[10:11]
	v_add_f64_e64 v[10:11], v[66:67], -v[48:49]
	s_delay_alu instid0(VALU_DEP_1) | instskip(NEXT) | instid1(VALU_DEP_1)
	v_add_f64_e32 v[20:21], v[10:11], v[8:9]
	v_mul_f64_e32 v[22:23], 0x3ff921fb54442d18, v[20:21]
	v_add_f64_e64 v[10:11], v[20:21], -v[10:11]
	s_delay_alu instid0(VALU_DEP_2) | instskip(NEXT) | instid1(VALU_DEP_2)
	v_fma_f64 v[24:25], v[20:21], s[6:7], -v[22:23]
	v_add_f64_e64 v[8:9], v[8:9], -v[10:11]
	s_delay_alu instid0(VALU_DEP_2) | instskip(NEXT) | instid1(VALU_DEP_1)
	v_fmac_f64_e32 v[24:25], 0x3c91a62633145c07, v[20:21]
	v_fmac_f64_e32 v[24:25], 0x3ff921fb54442d18, v[8:9]
	s_delay_alu instid0(VALU_DEP_1) | instskip(NEXT) | instid1(VALU_DEP_1)
	v_add_f64_e32 v[8:9], v[22:23], v[24:25]
	v_add_f64_e64 v[10:11], v[8:9], -v[22:23]
	s_delay_alu instid0(VALU_DEP_1)
	v_add_f64_e64 v[10:11], v[24:25], -v[10:11]
.LBB1_4:                                ;   in Loop: Header=BB1_2 Depth=1
	s_or_saveexec_b32 s1, s1
	v_mul_f64_e64 v[20:21], |v[6:7]|, s[8:9]
	s_delay_alu instid0(VALU_DEP_1)
	v_rndne_f64_e32 v[24:25], v[20:21]
	s_xor_b32 exec_lo, exec_lo, s1
	s_cbranch_execz .LBB1_6
; %bb.5:                                ;   in Loop: Header=BB1_2 Depth=1
	s_delay_alu instid0(VALU_DEP_1) | instskip(SKIP_2) | instid1(VALU_DEP_3)
	v_fma_f64 v[8:9], v[24:25], s[10:11], |v[6:7]|
	v_mul_f64_e32 v[10:11], 0xbc91a62633145c00, v[24:25]
	v_cvt_i32_f64_e32 v26, v[24:25]
	v_fmamk_f64 v[30:31], v[24:25], 0xbc91a62633145c00, v[8:9]
	s_delay_alu instid0(VALU_DEP_3) | instskip(NEXT) | instid1(VALU_DEP_1)
	v_add_f64_e32 v[20:21], v[8:9], v[10:11]
	v_add_f64_e64 v[22:23], v[8:9], -v[20:21]
	s_delay_alu instid0(VALU_DEP_3) | instskip(NEXT) | instid1(VALU_DEP_2)
	v_add_f64_e64 v[8:9], v[20:21], -v[30:31]
	v_add_f64_e32 v[20:21], v[22:23], v[10:11]
	v_fmamk_f64 v[10:11], v[24:25], 0x3c91a62633145c00, v[10:11]
	s_delay_alu instid0(VALU_DEP_2) | instskip(NEXT) | instid1(VALU_DEP_1)
	v_add_f64_e32 v[8:9], v[8:9], v[20:21]
	v_add_f64_e64 v[10:11], v[8:9], -v[10:11]
	s_delay_alu instid0(VALU_DEP_1) | instskip(NEXT) | instid1(VALU_DEP_1)
	v_fmac_f64_e32 v[10:11], 0xb97b839a252049c0, v[24:25]
	v_add_f64_e32 v[8:9], v[30:31], v[10:11]
	s_delay_alu instid0(VALU_DEP_1) | instskip(NEXT) | instid1(VALU_DEP_1)
	v_add_f64_e64 v[20:21], v[8:9], -v[30:31]
	v_add_f64_e64 v[10:11], v[10:11], -v[20:21]
.LBB1_6:                                ;   in Loop: Header=BB1_2 Depth=1
	s_or_b32 exec_lo, exec_lo, s1
                                        ; implicit-def: $vgpr29
                                        ; implicit-def: $vgpr20_vgpr21
                                        ; implicit-def: $vgpr22_vgpr23
	s_and_saveexec_b32 s1, s0
	s_delay_alu instid0(SALU_CYCLE_1)
	s_xor_b32 s0, exec_lo, s1
	s_cbranch_execz .LBB1_8
; %bb.7:                                ;   in Loop: Header=BB1_2 Depth=1
	v_cmp_le_f64_e64 vcc_lo, 0x7b000000, |v[6:7]|
	v_dual_cndmask_b32 v19, v27, v19 :: v_dual_cndmask_b32 v18, v6, v18
	s_delay_alu instid0(VALU_DEP_1) | instskip(SKIP_2) | instid1(VALU_DEP_3)
	v_mul_f64_e32 v[20:21], v[16:17], v[18:19]
	v_mul_f64_e32 v[22:23], v[14:15], v[18:19]
	;; [unrolled: 1-line block ×3, first 2 shown]
	v_fma_f64 v[16:17], v[16:17], v[18:19], -v[20:21]
	s_delay_alu instid0(VALU_DEP_3) | instskip(NEXT) | instid1(VALU_DEP_3)
	v_fma_f64 v[14:15], v[14:15], v[18:19], -v[22:23]
	v_fma_f64 v[12:13], v[12:13], v[18:19], -v[70:71]
	s_delay_alu instid0(VALU_DEP_3) | instskip(NEXT) | instid1(VALU_DEP_1)
	v_add_f64_e32 v[24:25], v[22:23], v[16:17]
	v_add_f64_e64 v[30:31], v[24:25], -v[22:23]
	v_add_f64_e32 v[68:69], v[20:21], v[24:25]
	s_delay_alu instid0(VALU_DEP_2) | instskip(SKIP_1) | instid1(VALU_DEP_3)
	v_add_f64_e64 v[66:67], v[24:25], -v[30:31]
	v_add_f64_e64 v[16:17], v[16:17], -v[30:31]
	v_ldexp_f64 v[30:31], v[68:69], -2
	s_delay_alu instid0(VALU_DEP_3) | instskip(SKIP_1) | instid1(VALU_DEP_3)
	v_add_f64_e64 v[22:23], v[22:23], -v[66:67]
	v_add_f64_e32 v[66:67], v[70:71], v[14:15]
	v_cmp_neq_f64_e64 vcc_lo, 0x7ff00000, |v[30:31]|
	s_delay_alu instid0(VALU_DEP_3) | instskip(SKIP_1) | instid1(VALU_DEP_1)
	v_add_f64_e32 v[16:17], v[16:17], v[22:23]
	v_fract_f64_e32 v[22:23], v[30:31]
	v_ldexp_f64 v[22:23], v[22:23], 2
	s_delay_alu instid0(VALU_DEP_1) | instskip(NEXT) | instid1(VALU_DEP_1)
	v_dual_add_f64 v[20:21], v[68:69], -v[20:21] :: v_dual_cndmask_b32 v22, 0, v22, vcc_lo
	v_dual_add_f64 v[20:21], v[24:25], -v[20:21] :: v_dual_cndmask_b32 v23, 0, v23, vcc_lo
	v_add_f64_e32 v[24:25], v[66:67], v[16:17]
	s_delay_alu instid0(VALU_DEP_1) | instskip(SKIP_1) | instid1(VALU_DEP_2)
	v_add_f64_e32 v[30:31], v[20:21], v[24:25]
	v_add_f64_e64 v[72:73], v[24:25], -v[66:67]
	v_add_f64_e32 v[68:69], v[30:31], v[22:23]
	s_delay_alu instid0(VALU_DEP_2) | instskip(SKIP_2) | instid1(VALU_DEP_4)
	v_add_f64_e64 v[78:79], v[24:25], -v[72:73]
	v_add_f64_e64 v[16:17], v[16:17], -v[72:73]
	;; [unrolled: 1-line block ×3, first 2 shown]
	v_cmp_gt_f64_e32 vcc_lo, 0, v[68:69]
	v_add_f64_e64 v[68:69], v[66:67], -v[70:71]
	s_delay_alu instid0(VALU_DEP_3) | instskip(SKIP_1) | instid1(VALU_DEP_3)
	v_add_f64_e64 v[18:19], v[24:25], -v[18:19]
                                        ; implicit-def: $vgpr24_vgpr25
	v_cndmask_b32_e64 v49, 0, 0x40100000, vcc_lo
	v_add_f64_e64 v[76:77], v[66:67], -v[68:69]
	v_add_f64_e64 v[14:15], v[14:15], -v[68:69]
	;; [unrolled: 1-line block ×3, first 2 shown]
	s_delay_alu instid0(VALU_DEP_4) | instskip(NEXT) | instid1(VALU_DEP_4)
	v_add_f64_e32 v[22:23], v[22:23], v[48:49]
	v_add_f64_e64 v[68:69], v[70:71], -v[76:77]
	s_delay_alu instid0(VALU_DEP_3) | instskip(NEXT) | instid1(VALU_DEP_3)
	v_add_f64_e32 v[16:17], v[16:17], v[66:67]
	v_add_f64_e32 v[74:75], v[30:31], v[22:23]
	s_delay_alu instid0(VALU_DEP_3) | instskip(NEXT) | instid1(VALU_DEP_2)
	v_add_f64_e32 v[14:15], v[14:15], v[68:69]
	v_cvt_i32_f64_e32 v27, v[74:75]
	s_delay_alu instid0(VALU_DEP_2) | instskip(NEXT) | instid1(VALU_DEP_2)
	v_add_f64_e32 v[14:15], v[14:15], v[16:17]
	v_cvt_f64_i32_e32 v[72:73], v27
	s_delay_alu instid0(VALU_DEP_2) | instskip(NEXT) | instid1(VALU_DEP_2)
	v_add_f64_e32 v[12:13], v[12:13], v[14:15]
	v_add_f64_e64 v[22:23], v[22:23], -v[72:73]
	s_delay_alu instid0(VALU_DEP_2) | instskip(NEXT) | instid1(VALU_DEP_2)
	v_add_f64_e32 v[12:13], v[18:19], v[12:13]
	v_add_f64_e32 v[16:17], v[30:31], v[22:23]
	s_delay_alu instid0(VALU_DEP_1) | instskip(SKIP_1) | instid1(VALU_DEP_2)
	v_add_f64_e64 v[14:15], v[16:17], -v[22:23]
	v_cmp_le_f64_e32 vcc_lo, 0.5, v[16:17]
	v_add_f64_e64 v[14:15], v[30:31], -v[14:15]
	v_cndmask_b32_e64 v49, 0, 0x3ff00000, vcc_lo
	v_add_co_ci_u32_e64 v29, null, 0, v27, vcc_lo
	s_delay_alu instid0(VALU_DEP_3) | instskip(NEXT) | instid1(VALU_DEP_3)
	v_add_f64_e32 v[12:13], v[12:13], v[14:15]
	v_add_f64_e64 v[14:15], v[16:17], -v[48:49]
	s_delay_alu instid0(VALU_DEP_1) | instskip(NEXT) | instid1(VALU_DEP_1)
	v_add_f64_e32 v[16:17], v[14:15], v[12:13]
	v_mul_f64_e32 v[18:19], 0x3ff921fb54442d18, v[16:17]
	v_add_f64_e64 v[14:15], v[16:17], -v[14:15]
	s_delay_alu instid0(VALU_DEP_2) | instskip(NEXT) | instid1(VALU_DEP_2)
	v_fma_f64 v[22:23], v[16:17], s[6:7], -v[18:19]
	v_add_f64_e64 v[12:13], v[12:13], -v[14:15]
	s_delay_alu instid0(VALU_DEP_2) | instskip(NEXT) | instid1(VALU_DEP_1)
	v_fmac_f64_e32 v[22:23], 0x3c91a62633145c07, v[16:17]
	v_fmac_f64_e32 v[22:23], 0x3ff921fb54442d18, v[12:13]
	s_delay_alu instid0(VALU_DEP_1) | instskip(NEXT) | instid1(VALU_DEP_1)
	v_add_f64_e32 v[20:21], v[18:19], v[22:23]
	v_add_f64_e64 v[12:13], v[20:21], -v[18:19]
	s_delay_alu instid0(VALU_DEP_1)
	v_add_f64_e64 v[22:23], v[22:23], -v[12:13]
	s_and_not1_saveexec_b32 s0, s0
	s_cbranch_execz .LBB1_1
	s_branch .LBB1_9
.LBB1_8:                                ;   in Loop: Header=BB1_2 Depth=1
	s_and_not1_saveexec_b32 s0, s0
	s_cbranch_execz .LBB1_1
.LBB1_9:                                ;   in Loop: Header=BB1_2 Depth=1
	s_delay_alu instid0(VALU_DEP_1) | instskip(SKIP_2) | instid1(VALU_DEP_2)
	v_fma_f64 v[12:13], v[24:25], s[10:11], |v[6:7]|
	v_mul_f64_e32 v[14:15], 0xbc91a62633145c00, v[24:25]
	v_cvt_i32_f64_e32 v29, v[24:25]
	v_add_f64_e32 v[16:17], v[12:13], v[14:15]
	s_delay_alu instid0(VALU_DEP_1) | instskip(SKIP_1) | instid1(VALU_DEP_1)
	v_add_f64_e64 v[18:19], v[12:13], -v[16:17]
	v_fmamk_f64 v[12:13], v[24:25], 0xbc91a62633145c00, v[12:13]
	v_add_f64_e64 v[16:17], v[16:17], -v[12:13]
	s_delay_alu instid0(VALU_DEP_3) | instskip(SKIP_1) | instid1(VALU_DEP_2)
	v_add_f64_e32 v[18:19], v[18:19], v[14:15]
	v_fmamk_f64 v[14:15], v[24:25], 0x3c91a62633145c00, v[14:15]
	v_add_f64_e32 v[16:17], v[16:17], v[18:19]
	s_delay_alu instid0(VALU_DEP_1) | instskip(NEXT) | instid1(VALU_DEP_1)
	v_add_f64_e64 v[14:15], v[16:17], -v[14:15]
	v_fmac_f64_e32 v[14:15], 0xb97b839a252049c0, v[24:25]
	s_delay_alu instid0(VALU_DEP_1) | instskip(NEXT) | instid1(VALU_DEP_1)
	v_add_f64_e32 v[20:21], v[12:13], v[14:15]
	v_add_f64_e64 v[12:13], v[20:21], -v[12:13]
	s_delay_alu instid0(VALU_DEP_1)
	v_add_f64_e64 v[22:23], v[14:15], -v[12:13]
	s_branch .LBB1_1
.LBB1_10:
	ds_load_2addr_b64 v[2:5], v56 offset0:2 offset1:4
	ds_load_2addr_b64 v[6:9], v56 offset0:6 offset1:8
	ds_load_2addr_b64 v[10:13], v56 offset0:10 offset1:12
	ds_load_b64 v[14:15], v56 offset:112
	v_dual_lshlrev_b32 v50, 3, v64 :: v_dual_bitop2_b32 v51, 7, v64 bitop3:0x40
	v_and_b32_e32 v16, 0x3f8, v64
	s_mov_b64 s[0:1], 0x3fe6a09e667f3bcd
	s_mov_b64 s[4:5], 4
	s_delay_alu instid0(VALU_DEP_2)
	v_add_nc_u32_e32 v17, 0x800, v50
	s_mov_b64 s[6:7], 0x3ff921fb54442d18
	v_mad_u32_u24 v16, 0x210, v51, v16
	s_mov_b64 s[8:9], 0x3fe45f306dc9c883
	s_mov_b64 s[10:11], 0xbff921fb54442d18
	s_wait_dscnt 0x2
	ds_store_2addr_b64 v50, v[0:1], v[8:9] offset1:66
	s_wait_dscnt 0x2
	ds_store_2addr_b64 v50, v[4:5], v[12:13] offset0:132 offset1:198
	ds_store_2addr_b64 v17, v[2:3], v[10:11] offset0:8 offset1:74
	s_wait_dscnt 0x3
	ds_store_2addr_b64 v17, v[6:7], v[14:15] offset0:140 offset1:206
	s_wait_dscnt 0x0
	s_barrier_signal -1
	s_barrier_wait -1
	ds_load_2addr_b64 v[0:3], v16 offset1:8
	ds_load_2addr_b64 v[4:7], v16 offset0:16 offset1:24
	ds_load_2addr_b64 v[8:11], v16 offset0:32 offset1:40
	;; [unrolled: 1-line block ×3, first 2 shown]
	s_wait_dscnt 0x3
	ds_store_2addr_b64 v56, v[0:1], v[2:3] offset1:2
	s_wait_dscnt 0x3
	ds_store_2addr_b64 v56, v[4:5], v[6:7] offset0:4 offset1:6
	s_wait_dscnt 0x3
	ds_store_2addr_b64 v56, v[8:9], v[10:11] offset0:8 offset1:10
	;; [unrolled: 2-line block ×3, first 2 shown]
	s_wait_dscnt 0x0
	s_barrier_signal -1
	s_barrier_wait -1
	ds_load_2addr_b64 v[0:3], v56 offset0:1 offset1:3
	ds_load_2addr_b64 v[4:7], v56 offset0:5 offset1:7
	;; [unrolled: 1-line block ×4, first 2 shown]
	s_wait_dscnt 0x1
	ds_store_2addr_b64 v50, v[0:1], v[8:9] offset1:66
	s_wait_dscnt 0x1
	ds_store_2addr_b64 v50, v[4:5], v[12:13] offset0:132 offset1:198
	ds_store_2addr_b64 v17, v[2:3], v[10:11] offset0:8 offset1:74
	;; [unrolled: 1-line block ×3, first 2 shown]
	s_wait_dscnt 0x0
	s_barrier_signal -1
	s_barrier_wait -1
	ds_load_2addr_b64 v[0:3], v16 offset1:8
	ds_load_2addr_b64 v[4:7], v16 offset0:16 offset1:24
	ds_load_2addr_b64 v[8:11], v16 offset0:32 offset1:40
	;; [unrolled: 1-line block ×3, first 2 shown]
	s_wait_dscnt 0x3
	ds_store_2addr_b64 v56, v[0:1], v[2:3] offset0:1 offset1:3
	s_wait_dscnt 0x3
	ds_store_2addr_b64 v56, v[4:5], v[6:7] offset0:5 offset1:7
	s_wait_dscnt 0x3
	ds_store_2addr_b64 v56, v[8:9], v[10:11] offset0:9 offset1:11
	s_wait_dscnt 0x3
	ds_store_2addr_b64 v56, v[12:13], v[14:15] offset0:13 offset1:15
	s_wait_dscnt 0x0
	s_barrier_signal -1
	s_barrier_wait -1
	ds_load_b128 v[0:3], v56 offset:48
	ds_load_b128 v[4:7], v56 offset:112
	;; [unrolled: 1-line block ×4, first 2 shown]
	s_wait_dscnt 0x2
	v_add_f64_e64 v[16:17], v[0:1], -v[4:5]
	v_add_f64_e64 v[18:19], v[2:3], -v[6:7]
	s_wait_dscnt 0x0
	v_add_f64_e64 v[24:25], v[8:9], -v[12:13]
	v_add_f64_e64 v[26:27], v[10:11], -v[14:15]
	v_add_f64_e32 v[8:9], v[8:9], v[12:13]
	v_add_f64_e32 v[10:11], v[10:11], v[14:15]
	v_add_f64_e32 v[12:13], v[0:1], v[4:5]
	v_add_f64_e32 v[14:15], v[2:3], v[6:7]
	v_add_f64_e64 v[28:29], -v[16:17], -v[18:19]
	v_add_f64_e64 v[30:31], v[16:17], -v[18:19]
	ds_load_b128 v[16:19], v56 offset:32
	ds_load_b128 v[20:23], v56 offset:96
	v_add_f64_e64 v[54:55], v[24:25], -v[26:27]
	v_add_f64_e32 v[24:25], v[24:25], v[26:27]
	ds_load_b128 v[0:3], v56
	ds_load_b128 v[4:7], v56 offset:64
	v_add_f64_e64 v[68:69], v[8:9], -v[12:13]
	v_add_f64_e32 v[8:9], v[8:9], v[12:13]
	s_wait_dscnt 0x2
	v_add_f64_e64 v[48:49], v[16:17], -v[20:21]
	v_add_f64_e64 v[52:53], v[18:19], -v[22:23]
	v_add_f64_e32 v[16:17], v[16:17], v[20:21]
	s_wait_dscnt 0x0
	v_add_f64_e32 v[66:67], v[2:3], v[6:7]
	v_add_f64_e32 v[18:19], v[18:19], v[22:23]
	v_add_f64_e64 v[2:3], v[2:3], -v[6:7]
	v_add_f64_e64 v[20:21], v[10:11], -v[14:15]
	v_add_f64_e32 v[10:11], v[10:11], v[14:15]
	v_mul_f64_e32 v[26:27], 0x3fe6a09e667f3bcd, v[28:29]
	v_mul_f64_e32 v[28:29], 0x3fe6a09e667f3bcd, v[30:31]
	v_add_f64_e32 v[30:31], v[0:1], v[4:5]
	v_add_f64_e64 v[0:1], v[0:1], -v[4:5]
	v_fma_f64 v[4:5], v[48:49], 0, -v[52:53]
	v_fmac_f64_e32 v[48:49], 0, v[52:53]
	v_dual_add_f64 v[72:73], v[66:67], v[18:19] :: v_dual_lshrrev_b32 v52, 3, v64
	v_mov_b32_e32 v53, v63
	v_fma_f64 v[6:7], v[54:55], s[0:1], -v[26:27]
	v_fma_f64 v[22:23], v[24:25], s[0:1], -v[28:29]
	v_add_f64_e32 v[70:71], v[30:31], v[16:17]
	v_add_f64_e64 v[12:13], v[30:31], -v[16:17]
	v_add_f64_e64 v[30:31], v[66:67], -v[18:19]
	v_fma_f64 v[66:67], v[68:69], 0, -v[20:21]
	v_fmac_f64_e32 v[68:69], 0, v[20:21]
	v_add_f64_e32 v[74:75], v[0:1], v[4:5]
	v_add_f64_e32 v[76:77], v[2:3], v[48:49]
	v_add_f64_e64 v[48:49], v[2:3], -v[48:49]
	v_add_f64_e64 v[4:5], v[0:1], -v[4:5]
	v_add_f64_e32 v[2:3], v[72:73], v[10:11]
	v_add_f64_e64 v[16:17], v[72:73], -v[10:11]
	v_mov_b64_e32 v[10:11], 0x3e21eeb69037ab78
	v_fma_f64 v[78:79], v[6:7], 0, -v[22:23]
	v_fmac_f64_e32 v[6:7], 0, v[22:23]
	v_add_f64_e32 v[0:1], v[70:71], v[8:9]
	v_add_f64_e64 v[14:15], v[70:71], -v[8:9]
	v_fmamk_f64 v[8:9], v[54:55], 0x3fe6a09e667f3bcd, v[26:27]
	v_fmamk_f64 v[54:55], v[24:25], 0x3fe6a09e667f3bcd, v[28:29]
	v_add_f64_e32 v[18:19], v[12:13], v[66:67]
	v_add_f64_e32 v[20:21], v[30:31], v[68:69]
	v_add_f64_e64 v[22:23], v[12:13], -v[66:67]
	v_add_f64_e64 v[24:25], v[30:31], -v[68:69]
	v_mov_b64_e32 v[12:13], 0xbe5ae600b42fdfa7
	v_add_f64_e32 v[26:27], v[74:75], v[8:9]
	v_add_f64_e64 v[64:65], v[74:75], -v[8:9]
	v_add_f64_e32 v[28:29], v[76:77], v[54:55]
	v_dual_add_f64 v[66:67], v[76:77], -v[54:55] :: v_dual_mov_b32 v8, 0
	v_add_f64_e32 v[68:69], v[4:5], v[78:79]
	v_add_f64_e32 v[70:71], v[48:49], v[6:7]
	v_add_f64_e64 v[74:75], v[48:49], -v[6:7]
	v_cvt_f64_u32_e32 v[6:7], v52
	v_add_f64_e64 v[72:73], v[4:5], -v[78:79]
	ds_store_b128 v56, v[0:3]
	ds_store_b128 v56, v[14:17] offset:16
	ds_store_b128 v56, v[18:21] offset:32
	;; [unrolled: 1-line block ×7, first 2 shown]
                                        ; implicit-def: $vgpr2_vgpr3
                                        ; implicit-def: $vgpr2_vgpr3
	;; [unrolled: 1-line block ×7, first 2 shown]
	s_branch .LBB1_12
.LBB1_11:                               ;   in Loop: Header=BB1_12 Depth=1
	s_or_b32 exec_lo, exec_lo, s0
	v_dual_mul_f64 v[20:21], v[16:17], v[16:17] :: v_dual_bitop2_b32 v9, 1, v54 bitop3:0x40
	v_mul_f64_e32 v[22:23], v[28:29], v[28:29]
	s_delay_alu instid0(VALU_DEP_3)
	v_mul_f64_e32 v[68:69], 0.5, v[18:19]
	v_cmp_class_f64_e64 s0, v[14:15], 0x1f8
	s_add_nc_u64 s[4:5], s[4:5], 4
	v_cmp_eq_u32_e32 vcc_lo, 0, v9
	s_cmp_eq_u32 s4, 32
	v_and_b32_e32 v14, 1, v64
	s_delay_alu instid0(VALU_DEP_1)
	v_cmp_eq_u32_e64 s1, 0, v14
	v_mul_f64_e32 v[76:77], 0.5, v[30:31]
	v_mul_f64_e32 v[24:25], 0.5, v[20:21]
	v_mul_f64_e64 v[70:71], v[16:17], -v[20:21]
	v_mul_f64_e32 v[26:27], 0.5, v[22:23]
	v_fmamk_f64 v[74:75], v[20:21], 0x3de5e0b2f9a43bb8, v[12:13]
	v_mul_f64_e64 v[78:79], v[28:29], -v[22:23]
	v_fmamk_f64 v[82:83], v[22:23], 0x3de5e0b2f9a43bb8, v[12:13]
	s_delay_alu instid0(VALU_DEP_3) | instskip(NEXT) | instid1(VALU_DEP_1)
	v_fmaak_f64 v[74:75], v[20:21], v[74:75], 0x3ec71de3796cde01
	v_fmaak_f64 v[74:75], v[20:21], v[74:75], 0xbf2a01a019e83e5c
	s_delay_alu instid0(VALU_DEP_1) | instskip(SKIP_1) | instid1(VALU_DEP_2)
	v_fmaak_f64 v[74:75], v[20:21], v[74:75], 0x3f81111111110bb3
	v_add_f64_e64 v[48:49], -v[24:25], 1.0
	v_fmac_f64_e32 v[68:69], v[70:71], v[74:75]
	v_add_f64_e64 v[66:67], -v[26:27], 1.0
	v_mul_f64_e32 v[74:75], v[20:21], v[20:21]
	s_delay_alu instid0(VALU_DEP_4) | instskip(NEXT) | instid1(VALU_DEP_4)
	v_add_f64_e64 v[72:73], -v[48:49], 1.0
	v_fma_f64 v[68:69], v[20:21], v[68:69], -v[18:19]
	s_delay_alu instid0(VALU_DEP_4) | instskip(NEXT) | instid1(VALU_DEP_3)
	v_add_f64_e64 v[80:81], -v[66:67], 1.0
	v_add_f64_e64 v[24:25], v[72:73], -v[24:25]
	v_fmaak_f64 v[72:73], v[22:23], v[82:83], 0x3ec71de3796cde01
	s_delay_alu instid0(VALU_DEP_3) | instskip(SKIP_2) | instid1(VALU_DEP_4)
	v_add_f64_e64 v[26:27], v[80:81], -v[26:27]
	v_mul_f64_e32 v[80:81], v[22:23], v[22:23]
	v_fmac_f64_e32 v[68:69], 0xbfc5555555555555, v[70:71]
	v_fmaak_f64 v[72:73], v[22:23], v[72:73], 0xbf2a01a019e83e5c
	s_delay_alu instid0(VALU_DEP_1) | instskip(NEXT) | instid1(VALU_DEP_1)
	v_fmaak_f64 v[72:73], v[22:23], v[72:73], 0x3f81111111110bb3
	v_fmac_f64_e32 v[76:77], v[78:79], v[72:73]
	v_fmamk_f64 v[72:73], v[20:21], 0xbda907db46cc5e42, v[10:11]
	v_fma_f64 v[18:19], v[16:17], -v[18:19], v[24:25]
	s_delay_alu instid0(VALU_DEP_2) | instskip(SKIP_2) | instid1(VALU_DEP_3)
	v_fmaak_f64 v[24:25], v[20:21], v[72:73], 0xbe927e4fa17f65f6
	v_fmamk_f64 v[72:73], v[22:23], 0xbda907db46cc5e42, v[10:11]
	v_fma_f64 v[26:27], v[28:29], -v[30:31], v[26:27]
	v_fmaak_f64 v[24:25], v[20:21], v[24:25], 0x3efa01a019f4ec90
	s_delay_alu instid0(VALU_DEP_1) | instskip(NEXT) | instid1(VALU_DEP_1)
	v_fmaak_f64 v[24:25], v[20:21], v[24:25], 0xbf56c16c16c16967
	v_fmaak_f64 v[20:21], v[20:21], v[24:25], 0x3fa5555555555555
	;; [unrolled: 1-line block ×3, first 2 shown]
	s_delay_alu instid0(VALU_DEP_2) | instskip(NEXT) | instid1(VALU_DEP_2)
	v_fmac_f64_e32 v[18:19], v[74:75], v[20:21]
	v_fmaak_f64 v[20:21], v[22:23], v[24:25], 0x3efa01a019f4ec90
	s_delay_alu instid0(VALU_DEP_1) | instskip(NEXT) | instid1(VALU_DEP_1)
	v_fmaak_f64 v[20:21], v[22:23], v[20:21], 0xbf56c16c16c16967
	v_fmaak_f64 v[20:21], v[22:23], v[20:21], 0x3fa5555555555555
	s_delay_alu instid0(VALU_DEP_1) | instskip(SKIP_2) | instid1(VALU_DEP_1)
	v_fmac_f64_e32 v[26:27], v[80:81], v[20:21]
	v_add_f64_e64 v[20:21], v[16:17], -v[68:69]
	v_add_f64_e32 v[18:19], v[48:49], v[18:19]
	v_dual_cndmask_b32 v9, v20, v18 :: v_dual_lshlrev_b32 v18, 30, v64
	s_delay_alu instid0(VALU_DEP_1) | instskip(NEXT) | instid1(VALU_DEP_4)
	v_dual_cndmask_b32 v18, 0, v9, s0 :: v_dual_bitop2_b32 v14, v18, v15 bitop3:0x14
	v_xor_b32_e32 v9, 0x80000000, v21
	v_fma_f64 v[76:77], v[22:23], v[76:77], -v[30:31]
	v_add_f64_e32 v[22:23], v[66:67], v[26:27]
	s_delay_alu instid0(VALU_DEP_3) | instskip(NEXT) | instid1(VALU_DEP_3)
	v_cndmask_b32_e32 v9, v9, v19, vcc_lo
	v_fmac_f64_e32 v[76:77], 0xbfc5555555555555, v[78:79]
	s_delay_alu instid0(VALU_DEP_1) | instskip(NEXT) | instid1(VALU_DEP_1)
	v_add_f64_e64 v[16:17], v[28:29], -v[76:77]
	v_dual_cndmask_b32 v15, v22, v16, s1 :: v_dual_cndmask_b32 v16, v23, v17, s1
	s_delay_alu instid0(VALU_DEP_1) | instskip(NEXT) | instid1(VALU_DEP_2)
	v_bitop3_b32 v16, v16, v14, 0x80000000 bitop3:0x78
	v_cndmask_b32_e64 v14, 0, v15, s0
	s_delay_alu instid0(VALU_DEP_2) | instskip(SKIP_1) | instid1(VALU_DEP_1)
	v_cndmask_b32_e64 v15, 0x7ff80000, v16, s0
	s_wait_dscnt 0x0
	v_mul_f64_e32 v[22:23], v[4:5], v[14:15]
	v_mul_f64_e32 v[16:17], v[2:3], v[14:15]
	v_lshlrev_b32_e32 v14, 30, v54
	s_delay_alu instid0(VALU_DEP_1) | instskip(NEXT) | instid1(VALU_DEP_1)
	v_bitop3_b32 v9, v9, v14, 0x80000000 bitop3:0x78
	v_cndmask_b32_e64 v19, 0x7ff80000, v9, s0
	s_delay_alu instid0(VALU_DEP_1)
	v_fma_f64 v[14:15], v[2:3], v[18:19], -v[22:23]
	v_fmac_f64_e32 v[16:17], v[4:5], v[18:19]
	ds_store_b128 v53, v[14:17]
	v_add_nc_u32_e32 v53, 16, v53
	s_cbranch_scc1 .LBB1_20
.LBB1_12:                               ; =>This Inner Loop Header: Depth=1
	s_add_nc_u64 s[0:1], s[2:3], s[4:5]
                                        ; implicit-def: $vgpr54
                                        ; implicit-def: $vgpr16_vgpr17
                                        ; implicit-def: $vgpr18_vgpr19
	s_load_b32 s0, s[0:1], 0x0
	s_wait_kmcnt 0x0
	v_cvt_f64_i32_e32 v[2:3], s0
	s_delay_alu instid0(VALU_DEP_1) | instskip(NEXT) | instid1(VALU_DEP_1)
	v_mul_f64_e32 v[2:3], 0x401921fb54442d18, v[2:3]
	v_ldexp_f64 v[2:3], v[2:3], -6
	s_delay_alu instid0(VALU_DEP_1)
	v_mul_f64_e32 v[14:15], v[2:3], v[6:7]
	ds_load_b128 v[2:5], v53
	v_cmp_ngt_f64_e64 s0, 0x41d00000, |v[14:15]|
	v_trig_preop_f64 v[24:25], |v[14:15]|, 0
	v_trig_preop_f64 v[22:23], |v[14:15]|, 1
	v_ldexp_f64 v[26:27], |v[14:15]|, 0xffffff80
	v_trig_preop_f64 v[20:21], |v[14:15]|, 2
	v_and_b32_e32 v55, 0x7fffffff, v15
	s_and_saveexec_b32 s1, s0
	s_delay_alu instid0(SALU_CYCLE_1)
	s_xor_b32 s1, exec_lo, s1
	s_cbranch_execz .LBB1_14
; %bb.13:                               ;   in Loop: Header=BB1_12 Depth=1
	v_cmp_le_f64_e64 vcc_lo, 0x7b000000, |v[14:15]|
	s_delay_alu instid0(VALU_DEP_4) | instskip(NEXT) | instid1(VALU_DEP_1)
	v_dual_cndmask_b32 v17, v55, v27 :: v_dual_cndmask_b32 v16, v14, v26
	v_mul_f64_e32 v[18:19], v[24:25], v[16:17]
	v_mul_f64_e32 v[28:29], v[22:23], v[16:17]
	;; [unrolled: 1-line block ×3, first 2 shown]
	s_delay_alu instid0(VALU_DEP_3) | instskip(NEXT) | instid1(VALU_DEP_3)
	v_fma_f64 v[30:31], v[24:25], v[16:17], -v[18:19]
	v_fma_f64 v[72:73], v[22:23], v[16:17], -v[28:29]
	s_delay_alu instid0(VALU_DEP_3) | instskip(NEXT) | instid1(VALU_DEP_3)
	v_fma_f64 v[16:17], v[20:21], v[16:17], -v[70:71]
	v_add_f64_e32 v[48:49], v[28:29], v[30:31]
	s_delay_alu instid0(VALU_DEP_1) | instskip(SKIP_1) | instid1(VALU_DEP_2)
	v_add_f64_e64 v[64:65], v[48:49], -v[28:29]
	v_add_f64_e32 v[68:69], v[18:19], v[48:49]
	v_add_f64_e64 v[66:67], v[48:49], -v[64:65]
	v_add_f64_e64 v[30:31], v[30:31], -v[64:65]
	s_delay_alu instid0(VALU_DEP_3) | instskip(NEXT) | instid1(VALU_DEP_3)
	v_ldexp_f64 v[64:65], v[68:69], -2
	v_add_f64_e64 v[28:29], v[28:29], -v[66:67]
	v_add_f64_e32 v[66:67], v[70:71], v[72:73]
	s_delay_alu instid0(VALU_DEP_3) | instskip(NEXT) | instid1(VALU_DEP_3)
	v_cmp_neq_f64_e64 vcc_lo, 0x7ff00000, |v[64:65]|
	v_add_f64_e32 v[28:29], v[30:31], v[28:29]
	v_fract_f64_e32 v[30:31], v[64:65]
	s_delay_alu instid0(VALU_DEP_1) | instskip(NEXT) | instid1(VALU_DEP_1)
	v_ldexp_f64 v[30:31], v[30:31], 2
	v_cndmask_b32_e32 v31, 0, v31, vcc_lo
	v_add_f64_e64 v[18:19], v[68:69], -v[18:19]
	s_delay_alu instid0(VALU_DEP_3) | instskip(NEXT) | instid1(VALU_DEP_2)
	v_cndmask_b32_e32 v30, 0, v30, vcc_lo
	v_add_f64_e64 v[18:19], v[48:49], -v[18:19]
	v_add_f64_e32 v[48:49], v[66:67], v[28:29]
	s_delay_alu instid0(VALU_DEP_1) | instskip(SKIP_1) | instid1(VALU_DEP_2)
	v_add_f64_e32 v[64:65], v[18:19], v[48:49]
	v_add_f64_e64 v[74:75], v[48:49], -v[66:67]
	v_add_f64_e32 v[68:69], v[64:65], v[30:31]
	s_delay_alu instid0(VALU_DEP_2) | instskip(SKIP_2) | instid1(VALU_DEP_4)
	v_add_f64_e64 v[80:81], v[48:49], -v[74:75]
	v_add_f64_e64 v[28:29], v[28:29], -v[74:75]
	;; [unrolled: 1-line block ×3, first 2 shown]
	v_cmp_gt_f64_e32 vcc_lo, 0, v[68:69]
	v_add_f64_e64 v[68:69], v[66:67], -v[70:71]
	s_delay_alu instid0(VALU_DEP_3) | instskip(SKIP_1) | instid1(VALU_DEP_3)
	v_add_f64_e64 v[18:19], v[48:49], -v[18:19]
	v_cndmask_b32_e64 v9, 0, 0x40100000, vcc_lo
	v_add_f64_e64 v[78:79], v[66:67], -v[68:69]
	v_add_f64_e64 v[68:69], v[72:73], -v[68:69]
	;; [unrolled: 1-line block ×3, first 2 shown]
	s_delay_alu instid0(VALU_DEP_4) | instskip(NEXT) | instid1(VALU_DEP_4)
	v_add_f64_e32 v[30:31], v[30:31], v[8:9]
	v_add_f64_e64 v[72:73], v[70:71], -v[78:79]
	s_delay_alu instid0(VALU_DEP_3) | instskip(NEXT) | instid1(VALU_DEP_3)
	v_add_f64_e32 v[28:29], v[28:29], v[66:67]
	v_add_f64_e32 v[76:77], v[64:65], v[30:31]
	s_delay_alu instid0(VALU_DEP_3) | instskip(NEXT) | instid1(VALU_DEP_2)
	v_add_f64_e32 v[68:69], v[68:69], v[72:73]
	v_cvt_i32_f64_e32 v54, v[76:77]
	s_delay_alu instid0(VALU_DEP_2) | instskip(NEXT) | instid1(VALU_DEP_2)
	v_add_f64_e32 v[28:29], v[68:69], v[28:29]
	v_cvt_f64_i32_e32 v[74:75], v54
	s_delay_alu instid0(VALU_DEP_2) | instskip(NEXT) | instid1(VALU_DEP_2)
	v_add_f64_e32 v[16:17], v[16:17], v[28:29]
	v_add_f64_e64 v[30:31], v[30:31], -v[74:75]
	s_delay_alu instid0(VALU_DEP_2) | instskip(NEXT) | instid1(VALU_DEP_2)
	v_add_f64_e32 v[16:17], v[18:19], v[16:17]
	v_add_f64_e32 v[66:67], v[64:65], v[30:31]
	s_delay_alu instid0(VALU_DEP_1) | instskip(SKIP_1) | instid1(VALU_DEP_2)
	v_add_f64_e64 v[28:29], v[66:67], -v[30:31]
	v_cmp_le_f64_e32 vcc_lo, 0.5, v[66:67]
	v_add_f64_e64 v[18:19], v[64:65], -v[28:29]
	v_cndmask_b32_e64 v9, 0, 0x3ff00000, vcc_lo
	v_add_co_ci_u32_e64 v54, null, 0, v54, vcc_lo
	s_delay_alu instid0(VALU_DEP_3) | instskip(NEXT) | instid1(VALU_DEP_3)
	v_add_f64_e32 v[16:17], v[16:17], v[18:19]
	v_add_f64_e64 v[18:19], v[66:67], -v[8:9]
	s_delay_alu instid0(VALU_DEP_1) | instskip(NEXT) | instid1(VALU_DEP_1)
	v_add_f64_e32 v[28:29], v[18:19], v[16:17]
	v_mul_f64_e32 v[30:31], 0x3ff921fb54442d18, v[28:29]
	v_add_f64_e64 v[18:19], v[28:29], -v[18:19]
	s_delay_alu instid0(VALU_DEP_2) | instskip(NEXT) | instid1(VALU_DEP_2)
	v_fma_f64 v[48:49], v[28:29], s[6:7], -v[30:31]
	v_add_f64_e64 v[16:17], v[16:17], -v[18:19]
	s_delay_alu instid0(VALU_DEP_2) | instskip(NEXT) | instid1(VALU_DEP_1)
	v_fmac_f64_e32 v[48:49], 0x3c91a62633145c07, v[28:29]
	v_fmac_f64_e32 v[48:49], 0x3ff921fb54442d18, v[16:17]
	s_delay_alu instid0(VALU_DEP_1) | instskip(NEXT) | instid1(VALU_DEP_1)
	v_add_f64_e32 v[16:17], v[30:31], v[48:49]
	v_add_f64_e64 v[18:19], v[16:17], -v[30:31]
	s_delay_alu instid0(VALU_DEP_1)
	v_add_f64_e64 v[18:19], v[48:49], -v[18:19]
.LBB1_14:                               ;   in Loop: Header=BB1_12 Depth=1
	s_or_saveexec_b32 s1, s1
	v_mul_f64_e64 v[28:29], |v[14:15]|, s[8:9]
	s_delay_alu instid0(VALU_DEP_1)
	v_rndne_f64_e32 v[48:49], v[28:29]
	s_xor_b32 exec_lo, exec_lo, s1
	s_cbranch_execz .LBB1_16
; %bb.15:                               ;   in Loop: Header=BB1_12 Depth=1
	s_delay_alu instid0(VALU_DEP_1) | instskip(SKIP_2) | instid1(VALU_DEP_3)
	v_fma_f64 v[16:17], v[48:49], s[10:11], |v[14:15]|
	v_mul_f64_e32 v[18:19], 0xbc91a62633145c00, v[48:49]
	v_cvt_i32_f64_e32 v54, v[48:49]
	v_fmamk_f64 v[64:65], v[48:49], 0xbc91a62633145c00, v[16:17]
	s_delay_alu instid0(VALU_DEP_3) | instskip(NEXT) | instid1(VALU_DEP_1)
	v_add_f64_e32 v[28:29], v[16:17], v[18:19]
	v_add_f64_e64 v[30:31], v[16:17], -v[28:29]
	s_delay_alu instid0(VALU_DEP_3) | instskip(NEXT) | instid1(VALU_DEP_2)
	v_add_f64_e64 v[16:17], v[28:29], -v[64:65]
	v_add_f64_e32 v[28:29], v[30:31], v[18:19]
	v_fmamk_f64 v[18:19], v[48:49], 0x3c91a62633145c00, v[18:19]
	s_delay_alu instid0(VALU_DEP_2) | instskip(NEXT) | instid1(VALU_DEP_1)
	v_add_f64_e32 v[16:17], v[16:17], v[28:29]
	v_add_f64_e64 v[18:19], v[16:17], -v[18:19]
	s_delay_alu instid0(VALU_DEP_1) | instskip(NEXT) | instid1(VALU_DEP_1)
	v_fmac_f64_e32 v[18:19], 0xb97b839a252049c0, v[48:49]
	v_add_f64_e32 v[16:17], v[64:65], v[18:19]
	s_delay_alu instid0(VALU_DEP_1) | instskip(NEXT) | instid1(VALU_DEP_1)
	v_add_f64_e64 v[28:29], v[16:17], -v[64:65]
	v_add_f64_e64 v[18:19], v[18:19], -v[28:29]
.LBB1_16:                               ;   in Loop: Header=BB1_12 Depth=1
	s_or_b32 exec_lo, exec_lo, s1
                                        ; implicit-def: $vgpr64
                                        ; implicit-def: $vgpr28_vgpr29
                                        ; implicit-def: $vgpr30_vgpr31
	s_and_saveexec_b32 s1, s0
	s_delay_alu instid0(SALU_CYCLE_1)
	s_xor_b32 s0, exec_lo, s1
	s_cbranch_execz .LBB1_18
; %bb.17:                               ;   in Loop: Header=BB1_12 Depth=1
	v_cmp_le_f64_e64 vcc_lo, 0x7b000000, |v[14:15]|
	v_dual_cndmask_b32 v27, v55, v27 :: v_dual_cndmask_b32 v26, v14, v26
	s_delay_alu instid0(VALU_DEP_1) | instskip(SKIP_2) | instid1(VALU_DEP_3)
	v_mul_f64_e32 v[28:29], v[24:25], v[26:27]
	v_mul_f64_e32 v[30:31], v[22:23], v[26:27]
	;; [unrolled: 1-line block ×3, first 2 shown]
	v_fma_f64 v[24:25], v[24:25], v[26:27], -v[28:29]
	s_delay_alu instid0(VALU_DEP_3) | instskip(NEXT) | instid1(VALU_DEP_3)
	v_fma_f64 v[22:23], v[22:23], v[26:27], -v[30:31]
	v_fma_f64 v[20:21], v[20:21], v[26:27], -v[70:71]
	s_delay_alu instid0(VALU_DEP_3) | instskip(NEXT) | instid1(VALU_DEP_1)
	v_add_f64_e32 v[48:49], v[30:31], v[24:25]
	v_add_f64_e64 v[64:65], v[48:49], -v[30:31]
	v_add_f64_e32 v[68:69], v[28:29], v[48:49]
	s_delay_alu instid0(VALU_DEP_2) | instskip(SKIP_1) | instid1(VALU_DEP_3)
	v_add_f64_e64 v[66:67], v[48:49], -v[64:65]
	v_add_f64_e64 v[24:25], v[24:25], -v[64:65]
	v_ldexp_f64 v[64:65], v[68:69], -2
	v_add_f64_e64 v[28:29], v[68:69], -v[28:29]
	s_delay_alu instid0(VALU_DEP_4) | instskip(SKIP_1) | instid1(VALU_DEP_4)
	v_add_f64_e64 v[30:31], v[30:31], -v[66:67]
	v_add_f64_e32 v[66:67], v[70:71], v[22:23]
	v_cmp_neq_f64_e64 vcc_lo, 0x7ff00000, |v[64:65]|
	s_delay_alu instid0(VALU_DEP_3) | instskip(SKIP_1) | instid1(VALU_DEP_1)
	v_add_f64_e32 v[24:25], v[24:25], v[30:31]
	v_fract_f64_e32 v[30:31], v[64:65]
	v_ldexp_f64 v[30:31], v[30:31], 2
	s_delay_alu instid0(VALU_DEP_1) | instskip(NEXT) | instid1(VALU_DEP_2)
	v_dual_add_f64 v[28:29], v[48:49], -v[28:29] :: v_dual_cndmask_b32 v31, 0, v31, vcc_lo
	v_dual_add_f64 v[48:49], v[66:67], v[24:25] :: v_dual_cndmask_b32 v30, 0, v30, vcc_lo
	s_delay_alu instid0(VALU_DEP_1) | instskip(SKIP_1) | instid1(VALU_DEP_2)
	v_add_f64_e32 v[64:65], v[28:29], v[48:49]
	v_add_f64_e64 v[72:73], v[48:49], -v[66:67]
	v_add_f64_e32 v[68:69], v[64:65], v[30:31]
	s_delay_alu instid0(VALU_DEP_2) | instskip(SKIP_2) | instid1(VALU_DEP_4)
	v_add_f64_e64 v[78:79], v[48:49], -v[72:73]
	v_add_f64_e64 v[24:25], v[24:25], -v[72:73]
	v_add_f64_e64 v[26:27], v[64:65], -v[28:29]
	v_cmp_gt_f64_e32 vcc_lo, 0, v[68:69]
	v_add_f64_e64 v[68:69], v[66:67], -v[70:71]
	s_delay_alu instid0(VALU_DEP_3) | instskip(SKIP_1) | instid1(VALU_DEP_3)
	v_add_f64_e64 v[26:27], v[48:49], -v[26:27]
                                        ; implicit-def: $vgpr48_vgpr49
	v_cndmask_b32_e64 v9, 0, 0x40100000, vcc_lo
	v_add_f64_e64 v[76:77], v[66:67], -v[68:69]
	v_add_f64_e64 v[22:23], v[22:23], -v[68:69]
	;; [unrolled: 1-line block ×3, first 2 shown]
	s_delay_alu instid0(VALU_DEP_4) | instskip(NEXT) | instid1(VALU_DEP_4)
	v_add_f64_e32 v[30:31], v[30:31], v[8:9]
	v_add_f64_e64 v[68:69], v[70:71], -v[76:77]
	s_delay_alu instid0(VALU_DEP_3) | instskip(NEXT) | instid1(VALU_DEP_3)
	v_add_f64_e32 v[24:25], v[24:25], v[66:67]
	v_add_f64_e32 v[74:75], v[64:65], v[30:31]
	s_delay_alu instid0(VALU_DEP_3) | instskip(NEXT) | instid1(VALU_DEP_2)
	v_add_f64_e32 v[22:23], v[22:23], v[68:69]
	v_cvt_i32_f64_e32 v9, v[74:75]
	s_delay_alu instid0(VALU_DEP_2) | instskip(NEXT) | instid1(VALU_DEP_2)
	v_add_f64_e32 v[22:23], v[22:23], v[24:25]
	v_cvt_f64_i32_e32 v[72:73], v9
	s_delay_alu instid0(VALU_DEP_2) | instskip(NEXT) | instid1(VALU_DEP_2)
	v_add_f64_e32 v[20:21], v[20:21], v[22:23]
	v_add_f64_e64 v[30:31], v[30:31], -v[72:73]
	s_delay_alu instid0(VALU_DEP_2) | instskip(NEXT) | instid1(VALU_DEP_2)
	v_add_f64_e32 v[20:21], v[26:27], v[20:21]
	v_add_f64_e32 v[24:25], v[64:65], v[30:31]
	s_delay_alu instid0(VALU_DEP_1) | instskip(SKIP_1) | instid1(VALU_DEP_2)
	v_add_f64_e64 v[22:23], v[24:25], -v[30:31]
	v_cmp_le_f64_e32 vcc_lo, 0.5, v[24:25]
	v_add_f64_e64 v[22:23], v[64:65], -v[22:23]
	v_add_co_ci_u32_e64 v64, null, 0, v9, vcc_lo
	v_cndmask_b32_e64 v9, 0, 0x3ff00000, vcc_lo
	s_delay_alu instid0(VALU_DEP_3) | instskip(NEXT) | instid1(VALU_DEP_2)
	v_add_f64_e32 v[20:21], v[20:21], v[22:23]
	v_add_f64_e64 v[22:23], v[24:25], -v[8:9]
	s_delay_alu instid0(VALU_DEP_1) | instskip(NEXT) | instid1(VALU_DEP_1)
	v_add_f64_e32 v[24:25], v[22:23], v[20:21]
	v_mul_f64_e32 v[26:27], 0x3ff921fb54442d18, v[24:25]
	v_add_f64_e64 v[22:23], v[24:25], -v[22:23]
	s_delay_alu instid0(VALU_DEP_2) | instskip(NEXT) | instid1(VALU_DEP_2)
	v_fma_f64 v[30:31], v[24:25], s[6:7], -v[26:27]
	v_add_f64_e64 v[20:21], v[20:21], -v[22:23]
	s_delay_alu instid0(VALU_DEP_2) | instskip(NEXT) | instid1(VALU_DEP_1)
	v_fmac_f64_e32 v[30:31], 0x3c91a62633145c07, v[24:25]
	v_fmac_f64_e32 v[30:31], 0x3ff921fb54442d18, v[20:21]
	s_delay_alu instid0(VALU_DEP_1) | instskip(NEXT) | instid1(VALU_DEP_1)
	v_add_f64_e32 v[28:29], v[26:27], v[30:31]
	v_add_f64_e64 v[20:21], v[28:29], -v[26:27]
	s_delay_alu instid0(VALU_DEP_1)
	v_add_f64_e64 v[30:31], v[30:31], -v[20:21]
	s_and_not1_saveexec_b32 s0, s0
	s_cbranch_execz .LBB1_11
	s_branch .LBB1_19
.LBB1_18:                               ;   in Loop: Header=BB1_12 Depth=1
	s_and_not1_saveexec_b32 s0, s0
	s_cbranch_execz .LBB1_11
.LBB1_19:                               ;   in Loop: Header=BB1_12 Depth=1
	s_delay_alu instid0(VALU_DEP_1) | instskip(SKIP_2) | instid1(VALU_DEP_2)
	v_fma_f64 v[20:21], v[48:49], s[10:11], |v[14:15]|
	v_mul_f64_e32 v[22:23], 0xbc91a62633145c00, v[48:49]
	v_cvt_i32_f64_e32 v64, v[48:49]
	v_add_f64_e32 v[24:25], v[20:21], v[22:23]
	s_delay_alu instid0(VALU_DEP_1) | instskip(SKIP_1) | instid1(VALU_DEP_1)
	v_add_f64_e64 v[26:27], v[20:21], -v[24:25]
	v_fmamk_f64 v[20:21], v[48:49], 0xbc91a62633145c00, v[20:21]
	v_add_f64_e64 v[24:25], v[24:25], -v[20:21]
	s_delay_alu instid0(VALU_DEP_3) | instskip(SKIP_1) | instid1(VALU_DEP_2)
	v_add_f64_e32 v[26:27], v[26:27], v[22:23]
	v_fmamk_f64 v[22:23], v[48:49], 0x3c91a62633145c00, v[22:23]
	v_add_f64_e32 v[24:25], v[24:25], v[26:27]
	s_delay_alu instid0(VALU_DEP_1) | instskip(NEXT) | instid1(VALU_DEP_1)
	v_add_f64_e64 v[22:23], v[24:25], -v[22:23]
	v_fmac_f64_e32 v[22:23], 0xb97b839a252049c0, v[48:49]
	s_delay_alu instid0(VALU_DEP_1) | instskip(NEXT) | instid1(VALU_DEP_1)
	v_add_f64_e32 v[28:29], v[20:21], v[22:23]
	v_add_f64_e64 v[20:21], v[28:29], -v[20:21]
	s_delay_alu instid0(VALU_DEP_1)
	v_add_f64_e64 v[30:31], v[22:23], -v[20:21]
	s_branch .LBB1_11
.LBB1_20:
	ds_load_2addr_b64 v[2:5], v56 offset0:2 offset1:4
	ds_load_2addr_b64 v[6:9], v56 offset0:6 offset1:8
	;; [unrolled: 1-line block ×3, first 2 shown]
	ds_load_b64 v[14:15], v56 offset:112
	v_mul_u32_u24_e32 v16, 0x240, v52
	v_add_nc_u32_e32 v17, 0x800, v50
	s_mov_b64 s[0:1], 0x3fe6a09e667f3bcd
	s_wait_dscnt 0x2
	ds_store_2addr_b64 v50, v[0:1], v[8:9] offset1:72
	s_wait_dscnt 0x2
	ds_store_2addr_b64 v50, v[4:5], v[12:13] offset0:144 offset1:216
	ds_store_2addr_b64 v17, v[2:3], v[10:11] offset0:32 offset1:104
	s_wait_dscnt 0x3
	ds_store_2addr_b64 v17, v[6:7], v[14:15] offset0:176 offset1:248
	v_lshl_or_b32 v28, v51, 3, v16
	s_wait_dscnt 0x0
	s_barrier_signal -1
	s_barrier_wait -1
	ds_load_2addr_b64 v[0:3], v28 offset1:8
	ds_load_2addr_b64 v[4:7], v28 offset0:16 offset1:24
	ds_load_2addr_b64 v[8:11], v28 offset0:32 offset1:40
	;; [unrolled: 1-line block ×3, first 2 shown]
	s_wait_dscnt 0x3
	ds_store_2addr_b64 v56, v[0:1], v[2:3] offset1:2
	s_wait_dscnt 0x3
	ds_store_2addr_b64 v56, v[4:5], v[6:7] offset0:4 offset1:6
	s_wait_dscnt 0x3
	ds_store_2addr_b64 v56, v[8:9], v[10:11] offset0:8 offset1:10
	s_wait_dscnt 0x3
	ds_store_2addr_b64 v56, v[12:13], v[14:15] offset0:12 offset1:14
	s_wait_dscnt 0x0
	s_barrier_signal -1
	s_barrier_wait -1
	ds_load_2addr_b64 v[0:3], v56 offset0:1 offset1:3
	ds_load_2addr_b64 v[4:7], v56 offset0:5 offset1:7
	;; [unrolled: 1-line block ×4, first 2 shown]
	s_wait_dscnt 0x1
	ds_store_2addr_b64 v50, v[0:1], v[8:9] offset1:72
	s_wait_dscnt 0x1
	ds_store_2addr_b64 v50, v[4:5], v[12:13] offset0:144 offset1:216
	ds_store_2addr_b64 v17, v[2:3], v[10:11] offset0:32 offset1:104
	;; [unrolled: 1-line block ×3, first 2 shown]
	s_wait_dscnt 0x0
	s_barrier_signal -1
	s_barrier_wait -1
	ds_load_2addr_b64 v[0:3], v28 offset0:16 offset1:24
	ds_load_2addr_b64 v[4:7], v56 offset0:4 offset1:6
	;; [unrolled: 1-line block ×4, first 2 shown]
	ds_load_2addr_b64 v[16:19], v28 offset1:8
	ds_load_2addr_b64 v[20:23], v56 offset0:8 offset1:10
	ds_load_2addr_b64 v[24:27], v56 offset1:2
	ds_load_2addr_b64 v[28:31], v28 offset0:32 offset1:40
	s_wait_dscnt 0x5
	v_add_f64_e64 v[48:49], v[6:7], -v[10:11]
	s_wait_dscnt 0x4
	v_add_f64_e64 v[50:51], v[2:3], -v[14:15]
	;; [unrolled: 2-line block ×4, first 2 shown]
	v_add_f64_e32 v[22:23], v[26:27], v[22:23]
	v_add_f64_e32 v[18:19], v[18:19], v[30:31]
	;; [unrolled: 1-line block ×4, first 2 shown]
	v_add_f64_e64 v[10:11], v[4:5], -v[8:9]
	v_add_f64_e64 v[14:15], v[0:1], -v[12:13]
	v_add_f64_e32 v[4:5], v[4:5], v[8:9]
	v_add_f64_e32 v[8:9], v[24:25], v[20:21]
	;; [unrolled: 1-line block ×3, first 2 shown]
	v_add_f64_e64 v[20:21], v[24:25], -v[20:21]
	v_add_f64_e64 v[64:65], -v[48:49], -v[50:51]
	v_add_f64_e64 v[48:49], v[48:49], -v[50:51]
	v_add_f64_e64 v[26:27], v[52:53], -v[54:55]
	v_add_f64_e32 v[30:31], v[52:53], v[54:55]
	v_add_f64_e32 v[52:53], v[16:17], v[28:29]
	v_add_f64_e64 v[12:13], v[22:23], -v[6:7]
	v_add_f64_e64 v[54:55], v[18:19], -v[2:3]
	;; [unrolled: 1-line block ×3, first 2 shown]
	v_fma_f64 v[24:25], v[10:11], 0, -v[14:15]
	v_fmac_f64_e32 v[10:11], 0, v[14:15]
	v_add_f64_e32 v[6:7], v[22:23], v[6:7]
	v_add_f64_e32 v[2:3], v[18:19], v[2:3]
	v_mul_f64_e32 v[50:51], 0x3fe6a09e667f3bcd, v[64:65]
	v_mul_f64_e32 v[48:49], 0x3fe6a09e667f3bcd, v[48:49]
	v_add_f64_e32 v[64:65], v[8:9], v[4:5]
	v_add_f64_e64 v[4:5], v[8:9], -v[4:5]
	v_add_f64_e32 v[66:67], v[52:53], v[0:1]
	v_add_f64_e64 v[0:1], v[52:53], -v[0:1]
	v_fma_f64 v[8:9], v[12:13], 0, -v[54:55]
	v_fmac_f64_e32 v[12:13], 0, v[54:55]
	v_add_f64_e32 v[18:19], v[20:21], v[24:25]
	v_add_f64_e32 v[22:23], v[16:17], v[10:11]
	v_add_f64_e64 v[20:21], v[20:21], -v[24:25]
	v_add_f64_e64 v[10:11], v[16:17], -v[10:11]
	v_fma_f64 v[14:15], v[26:27], s[0:1], -v[50:51]
	v_fma_f64 v[28:29], v[30:31], s[0:1], -v[48:49]
	v_fmamk_f64 v[26:27], v[26:27], 0x3fe6a09e667f3bcd, v[50:51]
	v_fmamk_f64 v[30:31], v[30:31], 0x3fe6a09e667f3bcd, v[48:49]
	v_add_f64_e32 v[24:25], v[64:65], v[6:7]
	v_add_f64_e64 v[6:7], v[64:65], -v[6:7]
	v_add_f64_e64 v[48:49], v[66:67], -v[2:3]
	v_add_f64_e32 v[50:51], v[4:5], v[8:9]
	v_add_f64_e32 v[52:53], v[0:1], v[12:13]
	v_add_f64_e64 v[54:55], v[4:5], -v[8:9]
	v_add_f64_e64 v[64:65], v[0:1], -v[12:13]
	v_add_f64_e32 v[68:69], v[22:23], v[30:31]
	v_add_f64_e64 v[22:23], v[22:23], -v[30:31]
	v_fma_f64 v[16:17], v[14:15], 0, -v[28:29]
	v_fmac_f64_e32 v[14:15], 0, v[28:29]
	v_add_f64_e32 v[28:29], v[66:67], v[2:3]
	v_add_f64_e32 v[66:67], v[18:19], v[26:27]
	v_add_f64_e64 v[26:27], v[18:19], -v[26:27]
	v_ldexp_f64 v[0:1], v[24:25], -9
	v_ldexp_f64 v[4:5], v[6:7], -9
	;; [unrolled: 1-line block ×7, first 2 shown]
	v_add_f64_e32 v[30:31], v[20:21], v[16:17]
	v_add_f64_e32 v[70:71], v[10:11], v[14:15]
	v_add_f64_e64 v[72:73], v[20:21], -v[16:17]
	v_add_f64_e64 v[74:75], v[10:11], -v[14:15]
	v_ldexp_f64 v[2:3], v[28:29], -9
	v_ldexp_f64 v[10:11], v[52:53], -9
	;; [unrolled: 1-line block ×5, first 2 shown]
	ds_store_b128 v56, v[0:3]
	ds_store_b128 v56, v[4:7] offset:16
	v_ldexp_f64 v[24:25], v[30:31], -9
	v_ldexp_f64 v[26:27], v[70:71], -9
	;; [unrolled: 1-line block ×4, first 2 shown]
	ds_load_b128 v[0:3], v63
	ds_store_b128 v56, v[8:11] offset:32
	ds_store_b128 v56, v[12:15] offset:48
	ds_load_b128 v[4:7], v56
	ds_load_b128 v[8:11], v61
	ds_store_b128 v56, v[16:19] offset:64
	ds_store_b128 v56, v[20:23] offset:80
	ds_load_b128 v[12:15], v60
	ds_store_b128 v56, v[24:27] offset:96
	ds_load_b128 v[16:19], v62
	ds_load_b128 v[20:23], v57
	;; [unrolled: 1-line block ×3, first 2 shown]
	ds_store_b128 v56, v[28:31] offset:112
	ds_load_b128 v[28:31], v59
	s_wait_dscnt 0xa
	global_store_b128 v[32:33], v[4:7], off
	s_wait_dscnt 0x6
	s_clause 0x1
	global_store_b128 v[34:35], v[12:15], off
	global_store_b128 v[36:37], v[8:11], off
	s_wait_dscnt 0x4
	s_clause 0x1
	global_store_b128 v[38:39], v[16:19], off
	;; [unrolled: 4-line block ×3, first 2 shown]
	global_store_b128 v[44:45], v[20:23], off
	s_wait_dscnt 0x0
	global_store_b128 v[46:47], v[28:31], off
	s_sendmsg sendmsg(MSG_DEALLOC_VGPRS)
	s_endpgm
	.section	.rodata,"a",@progbits
	.p2align	6, 0x0
	.amdhsa_kernel _Z10ifft1D_512P15HIP_vector_typeIdLj2EE
		.amdhsa_group_segment_fixed_size 135680
		.amdhsa_private_segment_fixed_size 0
		.amdhsa_kernarg_size 8
		.amdhsa_user_sgpr_count 4
		.amdhsa_user_sgpr_dispatch_ptr 1
		.amdhsa_user_sgpr_queue_ptr 0
		.amdhsa_user_sgpr_kernarg_segment_ptr 1
		.amdhsa_user_sgpr_dispatch_id 0
		.amdhsa_user_sgpr_kernarg_preload_length 0
		.amdhsa_user_sgpr_kernarg_preload_offset 0
		.amdhsa_user_sgpr_private_segment_size 0
		.amdhsa_wavefront_size32 1
		.amdhsa_uses_dynamic_stack 0
		.amdhsa_enable_private_segment 0
		.amdhsa_system_sgpr_workgroup_id_x 1
		.amdhsa_system_sgpr_workgroup_id_y 0
		.amdhsa_system_sgpr_workgroup_id_z 0
		.amdhsa_system_sgpr_workgroup_info 0
		.amdhsa_system_vgpr_workitem_id 2
		.amdhsa_next_free_vgpr 94
		.amdhsa_next_free_sgpr 14
		.amdhsa_named_barrier_count 0
		.amdhsa_reserve_vcc 1
		.amdhsa_float_round_mode_32 0
		.amdhsa_float_round_mode_16_64 0
		.amdhsa_float_denorm_mode_32 3
		.amdhsa_float_denorm_mode_16_64 3
		.amdhsa_fp16_overflow 0
		.amdhsa_memory_ordered 1
		.amdhsa_forward_progress 1
		.amdhsa_inst_pref_size 61
		.amdhsa_round_robin_scheduling 0
		.amdhsa_exception_fp_ieee_invalid_op 0
		.amdhsa_exception_fp_denorm_src 0
		.amdhsa_exception_fp_ieee_div_zero 0
		.amdhsa_exception_fp_ieee_overflow 0
		.amdhsa_exception_fp_ieee_underflow 0
		.amdhsa_exception_fp_ieee_inexact 0
		.amdhsa_exception_int_div_zero 0
	.end_amdhsa_kernel
	.text
.Lfunc_end1:
	.size	_Z10ifft1D_512P15HIP_vector_typeIdLj2EE, .Lfunc_end1-_Z10ifft1D_512P15HIP_vector_typeIdLj2EE
                                        ; -- End function
	.set _Z10ifft1D_512P15HIP_vector_typeIdLj2EE.num_vgpr, 94
	.set _Z10ifft1D_512P15HIP_vector_typeIdLj2EE.num_agpr, 0
	.set _Z10ifft1D_512P15HIP_vector_typeIdLj2EE.numbered_sgpr, 14
	.set _Z10ifft1D_512P15HIP_vector_typeIdLj2EE.num_named_barrier, 0
	.set _Z10ifft1D_512P15HIP_vector_typeIdLj2EE.private_seg_size, 0
	.set _Z10ifft1D_512P15HIP_vector_typeIdLj2EE.uses_vcc, 1
	.set _Z10ifft1D_512P15HIP_vector_typeIdLj2EE.uses_flat_scratch, 0
	.set _Z10ifft1D_512P15HIP_vector_typeIdLj2EE.has_dyn_sized_stack, 0
	.set _Z10ifft1D_512P15HIP_vector_typeIdLj2EE.has_recursion, 0
	.set _Z10ifft1D_512P15HIP_vector_typeIdLj2EE.has_indirect_call, 0
	.section	.AMDGPU.csdata,"",@progbits
; Kernel info:
; codeLenInByte = 7728
; TotalNumSgprs: 16
; NumVgprs: 94
; ScratchSize: 0
; MemoryBound: 0
; FloatMode: 240
; IeeeMode: 1
; LDSByteSize: 135680 bytes/workgroup (compile time only)
; SGPRBlocks: 0
; VGPRBlocks: 5
; NumSGPRsForWavesPerEU: 16
; NumVGPRsForWavesPerEU: 94
; NamedBarCnt: 0
; Occupancy: 10
; WaveLimiterHint : 1
; COMPUTE_PGM_RSRC2:SCRATCH_EN: 0
; COMPUTE_PGM_RSRC2:USER_SGPR: 4
; COMPUTE_PGM_RSRC2:TRAP_HANDLER: 0
; COMPUTE_PGM_RSRC2:TGID_X_EN: 1
; COMPUTE_PGM_RSRC2:TGID_Y_EN: 0
; COMPUTE_PGM_RSRC2:TGID_Z_EN: 0
; COMPUTE_PGM_RSRC2:TIDIG_COMP_CNT: 2
	.text
	.p2alignl 7, 3214868480
	.fill 96, 4, 3214868480
	.section	.AMDGPU.gpr_maximums,"",@progbits
	.set amdgpu.max_num_vgpr, 0
	.set amdgpu.max_num_agpr, 0
	.set amdgpu.max_num_sgpr, 0
	.text
	.type	__const._Z9fft1D_512P15HIP_vector_typeIdLj2EE.reversed,@object ; @__const._Z9fft1D_512P15HIP_vector_typeIdLj2EE.reversed
	.section	.rodata.cst32,"aM",@progbits,32
	.p2align	4, 0x0
__const._Z9fft1D_512P15HIP_vector_typeIdLj2EE.reversed:
	.long	0                               ; 0x0
	.long	4                               ; 0x4
	.long	2                               ; 0x2
	.long	6                               ; 0x6
	.long	1                               ; 0x1
	.long	5                               ; 0x5
	.long	3                               ; 0x3
	.long	7                               ; 0x7
	.size	__const._Z9fft1D_512P15HIP_vector_typeIdLj2EE.reversed, 32

	.type	__const._Z10ifft1D_512P15HIP_vector_typeIdLj2EE.reversed,@object ; @__const._Z10ifft1D_512P15HIP_vector_typeIdLj2EE.reversed
	.p2align	4, 0x0
__const._Z10ifft1D_512P15HIP_vector_typeIdLj2EE.reversed:
	.long	0                               ; 0x0
	.long	4                               ; 0x4
	;; [unrolled: 1-line block ×8, first 2 shown]
	.size	__const._Z10ifft1D_512P15HIP_vector_typeIdLj2EE.reversed, 32

	.type	__hip_cuid_9d7126c7564bd67a,@object ; @__hip_cuid_9d7126c7564bd67a
	.section	.bss,"aw",@nobits
	.globl	__hip_cuid_9d7126c7564bd67a
__hip_cuid_9d7126c7564bd67a:
	.byte	0                               ; 0x0
	.size	__hip_cuid_9d7126c7564bd67a, 1

	.ident	"AMD clang version 22.0.0git (https://github.com/RadeonOpenCompute/llvm-project roc-7.2.4 26084 f58b06dce1f9c15707c5f808fd002e18c2accf7e)"
	.section	".note.GNU-stack","",@progbits
	.addrsig
	.addrsig_sym __hip_cuid_9d7126c7564bd67a
	.amdgpu_metadata
---
amdhsa.kernels:
  - .args:
      - .address_space:  global
        .offset:         0
        .size:           8
        .value_kind:     global_buffer
    .group_segment_fixed_size: 135680
    .kernarg_segment_align: 8
    .kernarg_segment_size: 8
    .language:       OpenCL C
    .language_version:
      - 2
      - 0
    .max_flat_workgroup_size: 1024
    .name:           _Z9fft1D_512P15HIP_vector_typeIdLj2EE
    .private_segment_fixed_size: 0
    .sgpr_count:     16
    .sgpr_spill_count: 0
    .symbol:         _Z9fft1D_512P15HIP_vector_typeIdLj2EE.kd
    .uniform_work_group_size: 1
    .uses_dynamic_stack: false
    .vgpr_count:     94
    .vgpr_spill_count: 0
    .wavefront_size: 32
  - .args:
      - .address_space:  global
        .offset:         0
        .size:           8
        .value_kind:     global_buffer
    .group_segment_fixed_size: 135680
    .kernarg_segment_align: 8
    .kernarg_segment_size: 8
    .language:       OpenCL C
    .language_version:
      - 2
      - 0
    .max_flat_workgroup_size: 1024
    .name:           _Z10ifft1D_512P15HIP_vector_typeIdLj2EE
    .private_segment_fixed_size: 0
    .sgpr_count:     16
    .sgpr_spill_count: 0
    .symbol:         _Z10ifft1D_512P15HIP_vector_typeIdLj2EE.kd
    .uniform_work_group_size: 1
    .uses_dynamic_stack: false
    .vgpr_count:     94
    .vgpr_spill_count: 0
    .wavefront_size: 32
amdhsa.target:   amdgcn-amd-amdhsa--gfx1250
amdhsa.version:
  - 1
  - 2
...

	.end_amdgpu_metadata
